;; amdgpu-corpus repo=ROCm/aiter kind=harvested arch=n/a opt=n/a

/root/src/amdgpu-assembly/repos/ROCm__aiter/hsa/gfx942/mla/mla_a8w8_qh128_m32x4_n16x2_msk1.co:	file format elf64-amdgpu

Disassembly of section .text:

0000000000002300 <_ZN5aiter31mla_a8w8_qh128_m32x4_n16x2_msk1E>:
	s_and_b32 s1, s1, 0xffff                                   // 000000002300: 8601FF01 0000FFFF
	s_load_dwordx2 s[8:9], s[0:1], 0x0                         // 000000002308: C0060200 00000000
	s_load_dwordx2 s[12:13], s[0:1], 0x10                      // 000000002310: C0060300 00000010
	s_load_dwordx2 s[16:17], s[0:1], 0x20                      // 000000002318: C0060400 00000020
	s_load_dwordx2 s[20:21], s[0:1], 0x30                      // 000000002320: C0060500 00000030
	s_load_dwordx2 s[28:29], s[0:1], 0x40                      // 000000002328: C0060700 00000040
	s_load_dwordx2 s[24:25], s[0:1], 0x50                      // 000000002330: C0060600 00000050
	s_load_dwordx2 s[30:31], s[0:1], 0x60                      // 000000002338: C0060780 00000060
	s_load_dword s64, s[0:1], 0x70                             // 000000002340: C0021000 00000070
	s_load_dword s65, s[0:1], 0x80                             // 000000002348: C0021040 00000080
	s_load_dword s67, s[0:1], 0x90                             // 000000002350: C00210C0 00000090
	s_load_dword s66, s[0:1], 0xa0                             // 000000002358: C0021080 000000A0
	s_load_dword s68, s[0:1], 0xb0                             // 000000002360: C0021100 000000B0
	s_load_dword s69, s[0:1], 0xc0                             // 000000002368: C0021140 000000C0
	s_load_dwordx2 s[32:33], s[0:1], 0xd0                      // 000000002370: C0060800 000000D0
	s_load_dwordx2 s[58:59], s[0:1], 0x100                     // 000000002378: C0060E80 00000100
	s_load_dwordx2 s[60:61], s[0:1], 0x110                     // 000000002380: C0060F00 00000110
	v_lshrrev_b32_e32 v1, 10, v0                               // 000000002388: 2002008A
	v_lshrrev_b32_e32 v2, 10, v1                               // 00000000238C: 2004028A
	v_and_b32_e32 v2, 0x3ff, v2                                // 000000002390: 260404FF 000003FF
	v_and_b32_e32 v1, 0x3ff, v1                                // 000000002398: 260202FF 000003FF
	v_and_b32_e32 v0, 0x3ff, v0                                // 0000000023A0: 260000FF 000003FF
	v_lshrrev_b32_e32 v3, 6, v0                                // 0000000023A8: 20060086
	v_and_b32_e32 v0, 63, v0                                   // 0000000023AC: 260000BF
	s_mov_b32 s2, s2                                           // 0000000023B0: BE820002
	s_mov_b32 s3, s3                                           // 0000000023B4: BE830003
	s_mov_b32 s4, s4                                           // 0000000023B8: BE840004
	v_readfirstlane_b32 s7, v3                                 // 0000000023BC: 7E0E0503
	s_waitcnt lgkmcnt(0)                                       // 0000000023C0: BF8CC07F
	s_mov_b32 s65, 0x80                                        // 0000000023C4: BEC100FF 00000080
	s_mul_i32 s56, s3, 4                                       // 0000000023CC: 92388403
	s_and_b32 s29, s29, 0xffff                                 // 0000000023D0: 861DFF1D 0000FFFF
	s_and_b32 s31, s31, 0xffff                                 // 0000000023D8: 861FFF1F 0000FFFF
	s_add_u32 s28, s56, s28                                    // 0000000023E0: 801C1C38
	s_addc_u32 s29, 0, s29                                     // 0000000023E4: 821D1D80
	s_load_dword s47, s[28:29], 0x0                            // 0000000023E8: C0020BCE 00000000
	s_load_dword s46, s[28:29], 0x4                            // 0000000023F0: C0020B8E 00000004
	s_mul_i32 s56, s3, 4                                       // 0000000023F8: 92388403
	s_and_b32 s33, s33, 0xffff                                 // 0000000023FC: 8621FF21 0000FFFF
	s_add_u32 s32, s56, s32                                    // 000000002404: 80202038
	s_addc_u32 s33, 0, s33                                     // 000000002408: 82212180
	s_load_dword s79, s[32:33], 0x0                            // 00000000240C: C00213D0 00000000
	s_load_dword s78, s[32:33], 0x4                            // 000000002414: C0021390 00000004
	s_mul_i32 s75, 0x800, s65                                  // 00000000241C: 924B41FF 00000800
	s_mul_i32 s74, 0x240, s65                                  // 000000002424: 924A41FF 00000240
	s_mul_i32 s56, 4, s65                                      // 00000000242C: 92384184
	s_mov_b32 s10, s75                                         // 000000002430: BE8A004B
	s_mov_b32 s18, -16                                         // 000000002434: BE9200D0
	s_mov_b32 s14, s56                                         // 000000002438: BE8E0038
	s_mov_b32 s22, -16                                         // 00000000243C: BE9600D0
	s_mov_b32 s26, -16                                         // 000000002440: BE9A00D0
	s_mov_b32 s11, 0x20000                                     // 000000002444: BE8B00FF 00020000
	s_mov_b32 s19, 0x20000                                     // 00000000244C: BE9300FF 00020000
	s_mov_b32 s15, 0x20000                                     // 000000002454: BE8F00FF 00020000
	s_mov_b32 s23, 0x20000                                     // 00000000245C: BE9700FF 00020000
	s_mov_b32 s27, 0x20000                                     // 000000002464: BE9B00FF 00020000
	s_and_b32 s9, s9, 0xffff                                   // 00000000246C: 8609FF09 0000FFFF
	s_and_b32 s17, s17, 0xffff                                 // 000000002474: 8611FF11 0000FFFF
	s_and_b32 s13, s13, 0xffff                                 // 00000000247C: 860DFF0D 0000FFFF
	s_and_b32 s21, s21, 0xffff                                 // 000000002484: 8615FF15 0000FFFF
	s_and_b32 s25, s25, 0xffff                                 // 00000000248C: 8619FF19 0000FFFF
	s_and_b32 s59, s59, 0xffff                                 // 000000002494: 863BFF3B 0000FFFF
	s_and_b32 s61, s61, 0xffff                                 // 00000000249C: 863DFF3D 0000FFFF
	s_or_b32 s9, s9, 0x40000                                   // 0000000024A4: 8709FF09 00040000
	s_or_b32 s17, s17, 0x40000                                 // 0000000024AC: 8711FF11 00040000
	s_or_b32 s13, s13, 0x40000                                 // 0000000024B4: 870DFF0D 00040000
	s_or_b32 s21, s21, 0x40000                                 // 0000000024BC: 8715FF15 00040000
	s_or_b32 s25, s25, 0x40000                                 // 0000000024C4: 8719FF19 00040000
	s_waitcnt lgkmcnt(0)                                       // 0000000024CC: BF8CC07F
	s_load_dword s42, s[58:59], 0x0                            // 0000000024D0: C0020A9D 00000000
	s_load_dword s43, s[60:61], 0x0                            // 0000000024D8: C0020ADE 00000000
	s_mul_i32 s80, s2, 1                                       // 0000000024E0: 92508102
	s_sub_u32 s81, s78, s79                                    // 0000000024E4: 80D14F4E
	s_cmp_le_u32 s81, s80                                      // 0000000024E8: BF0B5051
	s_cbranch_scc1 label_3565                                  // 0000000024EC: BF8534E9
	s_mov_b32 s69, 0                                           // 0000000024F0: BEC50080
	s_lshr_b32 s44, 32, s69                                    // 0000000024F4: 8F2C45A0
	s_mul_i32 s73, s44, 4                                      // 0000000024F8: 9249842C
	s_mul_i32 s73, s73, s67                                    // 0000000024FC: 92494349
	s_mul_i32 s45, s4, s44                                     // 000000002500: 922D2C04
	s_sub_u32 s50, s46, s47                                    // 000000002504: 80B22F2E
	s_lshl_b32 s56, s50, s69                                   // 000000002508: 8E384532
	s_sub_u32 s82, s56, s81                                    // 00000000250C: 80D25138
	s_mul_i32 s57, s2, 1                                       // 000000002510: 92398102
	s_add_u32 s82, s82, s57                                    // 000000002514: 80523952
	s_add_u32 s57, s82, 1                                      // 000000002518: 80398152
	s_min_u32 s56, s56, s57                                    // 00000000251C: 83B83938
	s_lshr_b32 s50, s56, s69                                   // 000000002520: 8F324538
	s_lshl_b32 s56, s45, s69                                   // 000000002524: 8E38452D
	s_add_u32 s83, s56, 31                                     // 000000002528: 80539F38
	s_mul_i32 s84, s67, 32                                     // 00000000252C: 9254A043
	s_cmp_le_u32 s50, s45                                      // 000000002530: BF0B2D32
	s_cbranch_scc1 label_3565                                  // 000000002534: BF8534D7
	s_mul_i32 s56, s50, 4                                      // 000000002538: 92388432
	s_mov_b32 s26, s56                                         // 00000000253C: BE9A0038
	s_mul_i32 s56, s47, 4                                      // 000000002540: 9238842F
	s_add_u32 s24, s56, s24                                    // 000000002544: 80181838
	s_addc_u32 s25, 0, s25                                     // 000000002548: 82191980
	s_mov_b32 s70, 0                                           // 00000000254C: BEC60080
	s_sub_u32 s71, s50, s45                                    // 000000002550: 80C72D32
	s_mul_i32 s39, s67, s44                                    // 000000002554: 92272C43
	s_mov_b32 s38, s71                                         // 000000002558: BEA60047
	v_cvt_f32_u32_e32 v20, s39                                 // 00000000255C: 7E280C27
	s_sub_i32 s56, 0, s39                                      // 000000002560: 81B82780
	v_rcp_iflag_f32_e32 v20, v20                               // 000000002564: 7E284714
	s_nop 0                                                    // 000000002568: BF800000
	v_mul_f32_e32 v20, 0x4f7ffffe, v20                         // 00000000256C: 0A2828FF 4F7FFFFE
	v_cvt_u32_f32_e32 v20, v20                                 // 000000002574: 7E280F14
	v_mul_lo_u32 v21, s56, v20                                 // 000000002578: D2850015 00022838
	v_mul_hi_u32 v21, v20, v21                                 // 000000002580: D2860015 00022B14
	v_add_u32_e32 v20, v20, v21                                // 000000002588: 68282B14
	v_mul_hi_u32 v20, s38, v20                                 // 00000000258C: D2860014 00022826
	v_mul_lo_u32 v21, v20, s39                                 // 000000002594: D2850015 00004F14
	v_sub_u32_e32 v23, s38, v21                                // 00000000259C: 6A2E2A26
	v_add_u32_e32 v22, 1, v20                                  // 0000000025A0: 682C2881
	v_cmp_le_u32_e32 vcc, s39, v23                             // 0000000025A4: 7D962E27
	v_subrev_u32_e32 v21, s39, v23                             // 0000000025A8: 6C2A2E27
	s_nop 0                                                    // 0000000025AC: BF800000
	v_cndmask_b32_e32 v20, v20, v22, vcc                       // 0000000025B0: 00282D14
	v_cndmask_b32_e32 v23, v23, v21, vcc                       // 0000000025B4: 002E2B17
	v_add_u32_e32 v21, 1, v20                                  // 0000000025B8: 682A2881
	v_cmp_le_u32_e32 vcc, s39, v23                             // 0000000025BC: 7D962E27
	s_nop 1                                                    // 0000000025C0: BF800001
	v_cndmask_b32_e32 v23, v20, v21, vcc                       // 0000000025C4: 002E2B14
	s_nop 3                                                    // 0000000025C8: BF800003
	v_readfirstlane_b32 s40, v23                               // 0000000025CC: 7E500517
	s_nop 3                                                    // 0000000025D0: BF800003
	s_mov_b32 s71, s40                                         // 0000000025D4: BEC70028
	s_mul_i32 s56, s71, s39                                    // 0000000025D8: 92382747
	s_sub_u32 s56, s38, s56                                    // 0000000025DC: 80B83826
	s_mov_b32 s57, 0                                           // 0000000025E0: BEB90080
	s_cmp_lt_u32 s56, s44                                      // 0000000025E4: BF0A2C38
	s_cselect_b32 s57, s57, 1                                  // 0000000025E8: 85398139
	s_add_u32 s71, s57, s71                                    // 0000000025EC: 80474739
	s_cmpk_eq_u32 s57, 0x1                                     // 0000000025F0: B4390001
	s_cselect_b32 s49, 0, s56                                  // 0000000025F4: 85313880
	s_mov_b32 s48, s49                                         // 0000000025F8: BEB00031
	v_lshrrev_b32_e32 v20, 3, v0                               // 0000000025FC: 20280083
	v_and_b32_e32 v21, 1, v20                                  // 000000002600: 262A2881
	v_lshlrev_b32_e32 v8, 3, v21                               // 000000002604: 24102A83
	v_and_b32_e32 v20, 4, v20                                  // 000000002608: 26282884
	v_add_u32_e32 v8, v8, v20                                  // 00000000260C: 68102908
	v_lshrrev_b32_e32 v20, 4, v0                               // 000000002610: 20280084
	v_lshlrev_b32_e32 v21, 2, v20                              // 000000002614: 242A2882
	v_lshrrev_b32_e32 v20, 5, v0                               // 000000002618: 20280085
	v_lshlrev_b32_e32 v20, 2, v20                              // 00000000261C: 24282882
	v_add_u32_e32 v21, v20, v21                                // 000000002620: 682A2B14
	v_add_u32_e32 v8, v21, v8                                  // 000000002624: 68101115
	v_add_u32_e64 v8, v8, s7                                   // 000000002628: D1340008 00000F08
	v_add_u32_e32 v8, s45, v8                                  // 000000002630: 6810102D
	v_lshlrev_b32_e32 v8, 2, v8                                // 000000002634: 24101082
	buffer_load_dword v10, v8, s[24:27], 0 offen               // 000000002638: E0501000 80060A08
	v_add_u32_e32 v8, s73, v8                                  // 000000002640: 68101049
	buffer_load_dword v11, v8, s[24:27], 0 offen               // 000000002644: E0501000 80060B08
	v_add_u32_e32 v8, s73, v8                                  // 00000000264C: 68101049
	s_add_u32 s56, s80, s79                                    // 000000002650: 80384F50
	v_mov_b32_e32 v20, s56                                     // 000000002654: 7E280238
	v_mul_lo_u32 v21, s74, v20                                 // 000000002658: D2850015 0002284A
	v_mul_hi_u32 v22, s74, v20                                 // 000000002660: D2860016 0002284A
	s_nop 2                                                    // 000000002668: BF800002
	v_readfirstlane_b32 s56, v21                               // 00000000266C: 7E700515
	v_readfirstlane_b32 s57, v22                               // 000000002670: 7E720516
	s_nop 4                                                    // 000000002674: BF800004
	s_add_u32 s16, s56, s16                                    // 000000002678: 80101038
	s_addc_u32 s17, s57, s17                                   // 00000000267C: 82111139
	s_sub_u32 s56, s81, s80                                    // 000000002680: 80B85051
	s_mul_i32 s56, s56, s74                                    // 000000002684: 92384A38
	s_mov_b32 s18, s56                                         // 000000002688: BE920038
	s_mul_i32 s56, s7, 0x240                                   // 00000000268C: 9238FF07 00000240
	v_lshlrev_b32_e32 v30, 2, v0                               // 000000002694: 243C0082
	v_add_u32_e32 v30, s56, v30                                // 000000002698: 683C3C38
	s_mul_i32 s56, s7, 0xc20                                   // 00000000269C: 9238FF07 00000C20
	s_add_u32 s34, 0, s56                                      // 0000000026A4: 80223880
	s_add_u32 s35, 0x3080, s34                                 // 0000000026A8: 802322FF 00003080
	s_add_u32 s36, 0x3080, s35                                 // 0000000026B0: 802423FF 00003080
	v_lshrrev_b32_e32 v20, 4, v0                               // 0000000026B8: 20280084
	v_lshlrev_b32_e32 v21, 2, v20                              // 0000000026BC: 242A2882
	v_and_b32_e32 v20, 15, v0                                  // 0000000026C0: 2628008F
	v_lshrrev_b32_e32 v22, 2, v20                              // 0000000026C4: 202C2882
	v_mul_i32_i24_e32 v22, 0xc0, v22                           // 0000000026C8: 0C2C2CFF 000000C0
	v_add_u32_e32 v21, v22, v21                                // 0000000026D0: 682A2B16
	v_and_b32_e32 v20, 3, v0                                   // 0000000026D4: 26280083
	v_mul_i32_i24_e32 v22, 0x308, v20                          // 0000000026D8: 0C2C28FF 00000308
	v_add_u32_e32 v21, v22, v21                                // 0000000026E0: 682A2B16
	v_lshlrev_b32_e32 v29, 2, v21                              // 0000000026E4: 243A2A82
	s_mov_b32 m0, s34                                          // 0000000026E8: BEFC0022
	v_add_u32_e32 v28, 0, v30                                  // 0000000026EC: 68383C80
	buffer_load_dword v28, s[16:19], 0 offen lds               // 0000000026F0: E0511000 8004001C
	buffer_load_dword v28, s[16:19], 0 offen offset:256 lds    // 0000000026F8: E0511100 8004001C
	buffer_load_dword v28, s[16:19], 0 offen offset:512 lds    // 000000002700: E0511200 8004001C
	s_add_u32 m0, m0, 0x300                                    // 000000002708: 807CFF7C 00000300
	v_add_u32_e32 v28, 0x900, v28                              // 000000002710: 683838FF 00000900
	buffer_load_dword v28, s[16:19], 0 offen lds               // 000000002718: E0511000 8004001C
	buffer_load_dword v28, s[16:19], 0 offen offset:256 lds    // 000000002720: E0511100 8004001C
	buffer_load_dword v28, s[16:19], 0 offen offset:512 lds    // 000000002728: E0511200 8004001C
	s_add_u32 m0, m0, 0x300                                    // 000000002730: 807CFF7C 00000300
	v_add_u32_e32 v28, 0x900, v28                              // 000000002738: 683838FF 00000900
	buffer_load_dword v28, s[16:19], 0 offen lds               // 000000002740: E0511000 8004001C
	buffer_load_dword v28, s[16:19], 0 offen offset:256 lds    // 000000002748: E0511100 8004001C
	;; [unrolled: 5-line block ×3, first 2 shown]
	buffer_load_dword v28, s[16:19], 0 offen offset:512 lds    // 000000002778: E0511200 8004001C
	s_add_u32 m0, m0, 0x300                                    // 000000002780: 807CFF7C 00000300
	v_add_u32_e32 v28, 0x900, v28                              // 000000002788: 683838FF 00000900
	s_mov_b32 m0, s35                                          // 000000002790: BEFC0023
	v_add_u32_e32 v28, 0x2400, v30                             // 000000002794: 68383CFF 00002400
	buffer_load_dword v28, s[16:19], 0 offen lds               // 00000000279C: E0511000 8004001C
	buffer_load_dword v28, s[16:19], 0 offen offset:256 lds    // 0000000027A4: E0511100 8004001C
	buffer_load_dword v28, s[16:19], 0 offen offset:512 lds    // 0000000027AC: E0511200 8004001C
	s_add_u32 m0, m0, 0x300                                    // 0000000027B4: 807CFF7C 00000300
	v_add_u32_e32 v28, 0x900, v28                              // 0000000027BC: 683838FF 00000900
	buffer_load_dword v28, s[16:19], 0 offen lds               // 0000000027C4: E0511000 8004001C
	buffer_load_dword v28, s[16:19], 0 offen offset:256 lds    // 0000000027CC: E0511100 8004001C
	buffer_load_dword v28, s[16:19], 0 offen offset:512 lds    // 0000000027D4: E0511200 8004001C
	s_add_u32 m0, m0, 0x300                                    // 0000000027DC: 807CFF7C 00000300
	v_add_u32_e32 v28, 0x900, v28                              // 0000000027E4: 683838FF 00000900
	buffer_load_dword v28, s[16:19], 0 offen lds               // 0000000027EC: E0511000 8004001C
	buffer_load_dword v28, s[16:19], 0 offen offset:256 lds    // 0000000027F4: E0511100 8004001C
	buffer_load_dword v28, s[16:19], 0 offen offset:512 lds    // 0000000027FC: E0511200 8004001C
	s_add_u32 m0, m0, 0x300                                    // 000000002804: 807CFF7C 00000300
	v_add_u32_e32 v28, 0x900, v28                              // 00000000280C: 683838FF 00000900
	buffer_load_dword v28, s[16:19], 0 offen lds               // 000000002814: E0511000 8004001C
	buffer_load_dword v28, s[16:19], 0 offen offset:256 lds    // 00000000281C: E0511100 8004001C
	buffer_load_dword v28, s[16:19], 0 offen offset:512 lds    // 000000002824: E0511200 8004001C
	s_add_u32 m0, m0, 0x300                                    // 00000000282C: 807CFF7C 00000300
	v_add_u32_e32 v28, 0x900, v28                              // 000000002834: 683838FF 00000900
	s_waitcnt vmcnt(12)                                        // 00000000283C: BF8C0F7C
	s_barrier                                                  // 000000002840: BF8A0000
	s_waitcnt lgkmcnt(0)                                       // 000000002844: BF8CC07F
	s_mov_b32 m0, s36                                          // 000000002848: BEFC0024
	v_add_u32_e32 v28, 0x4800, v30                             // 00000000284C: 68383CFF 00004800
	buffer_load_dword v28, s[16:19], 0 offen lds               // 000000002854: E0511000 8004001C
	buffer_load_dword v28, s[16:19], 0 offen offset:256 lds    // 00000000285C: E0511100 8004001C
	buffer_load_dword v28, s[16:19], 0 offen offset:512 lds    // 000000002864: E0511200 8004001C
	s_add_u32 m0, m0, 0x300                                    // 00000000286C: 807CFF7C 00000300
	v_add_u32_e32 v28, 0x900, v28                              // 000000002874: 683838FF 00000900
	buffer_load_dword v28, s[16:19], 0 offen lds               // 00000000287C: E0511000 8004001C
	buffer_load_dword v28, s[16:19], 0 offen offset:256 lds    // 000000002884: E0511100 8004001C
	buffer_load_dword v28, s[16:19], 0 offen offset:512 lds    // 00000000288C: E0511200 8004001C
	s_add_u32 m0, m0, 0x300                                    // 000000002894: 807CFF7C 00000300
	v_add_u32_e32 v28, 0x900, v28                              // 00000000289C: 683838FF 00000900
	buffer_load_dword v28, s[16:19], 0 offen lds               // 0000000028A4: E0511000 8004001C
	buffer_load_dword v28, s[16:19], 0 offen offset:256 lds    // 0000000028AC: E0511100 8004001C
	buffer_load_dword v28, s[16:19], 0 offen offset:512 lds    // 0000000028B4: E0511200 8004001C
	s_add_u32 m0, m0, 0x300                                    // 0000000028BC: 807CFF7C 00000300
	v_add_u32_e32 v28, 0x900, v28                              // 0000000028C4: 683838FF 00000900
	buffer_load_dword v28, s[16:19], 0 offen lds               // 0000000028CC: E0511000 8004001C
	buffer_load_dword v28, s[16:19], 0 offen offset:256 lds    // 0000000028D4: E0511100 8004001C
	buffer_load_dword v28, s[16:19], 0 offen offset:512 lds    // 0000000028DC: E0511200 8004001C
	s_add_u32 m0, m0, 0x300                                    // 0000000028E4: 807CFF7C 00000300
	v_add_u32_e32 v28, 0x900, v28                              // 0000000028EC: 683838FF 00000900
	s_cmp_eq_i32 s7, 0                                         // 0000000028F4: BF008007
	s_cbranch_scc0 label_0192                                  // 0000000028F8: BF840013
	ds_read_b128 a[0:3], v29                                   // 0000000028FC: DBFE0000 0000001D
	ds_read_b128 a[4:7], v29 offset:64                         // 000000002904: DBFE0040 0400001D
	ds_read_b128 a[8:11], v29 offset:128                       // 00000000290C: DBFE0080 0800001D
	ds_read_b128 a[12:15], v29 offset:192                      // 000000002914: DBFE00C0 0C00001D
	ds_read_b128 a[16:19], v29 offset:256                      // 00000000291C: DBFE0100 1000001D
	ds_read_b128 a[20:23], v29 offset:320                      // 000000002924: DBFE0140 1400001D
	ds_read_b128 a[24:27], v29 offset:384                      // 00000000292C: DBFE0180 1800001D
	ds_read_b128 a[28:31], v29 offset:448                      // 000000002934: DBFE01C0 1C00001D
	ds_read_b128 a[32:35], v29 offset:512                      // 00000000293C: DBFE0200 2000001D
	s_waitcnt lgkmcnt(0)                                       // 000000002944: BF8CC07F

0000000000002948 <label_0192>:
	s_waitcnt vmcnt(12)                                        // 000000002948: BF8C0F7C
	s_barrier                                                  // 00000000294C: BF8A0000
	s_mov_b32 m0, s34                                          // 000000002950: BEFC0022
	v_add_u32_e32 v28, 0x6c00, v30                             // 000000002954: 68383CFF 00006C00
	buffer_load_dword v28, s[16:19], 0 offen lds               // 00000000295C: E0511000 8004001C
	buffer_load_dword v28, s[16:19], 0 offen offset:256 lds    // 000000002964: E0511100 8004001C
	buffer_load_dword v28, s[16:19], 0 offen offset:512 lds    // 00000000296C: E0511200 8004001C
	s_add_u32 m0, m0, 0x300                                    // 000000002974: 807CFF7C 00000300
	v_add_u32_e32 v28, 0x900, v28                              // 00000000297C: 683838FF 00000900
	buffer_load_dword v28, s[16:19], 0 offen lds               // 000000002984: E0511000 8004001C
	buffer_load_dword v28, s[16:19], 0 offen offset:256 lds    // 00000000298C: E0511100 8004001C
	buffer_load_dword v28, s[16:19], 0 offen offset:512 lds    // 000000002994: E0511200 8004001C
	s_add_u32 m0, m0, 0x300                                    // 00000000299C: 807CFF7C 00000300
	v_add_u32_e32 v28, 0x900, v28                              // 0000000029A4: 683838FF 00000900
	buffer_load_dword v28, s[16:19], 0 offen lds               // 0000000029AC: E0511000 8004001C
	buffer_load_dword v28, s[16:19], 0 offen offset:256 lds    // 0000000029B4: E0511100 8004001C
	buffer_load_dword v28, s[16:19], 0 offen offset:512 lds    // 0000000029BC: E0511200 8004001C
	s_add_u32 m0, m0, 0x300                                    // 0000000029C4: 807CFF7C 00000300
	v_add_u32_e32 v28, 0x900, v28                              // 0000000029CC: 683838FF 00000900
	buffer_load_dword v28, s[16:19], 0 offen lds               // 0000000029D4: E0511000 8004001C
	buffer_load_dword v28, s[16:19], 0 offen offset:256 lds    // 0000000029DC: E0511100 8004001C
	buffer_load_dword v28, s[16:19], 0 offen offset:512 lds    // 0000000029E4: E0511200 8004001C
	s_add_u32 m0, m0, 0x300                                    // 0000000029EC: 807CFF7C 00000300
	v_add_u32_e32 v28, 0x900, v28                              // 0000000029F4: 683838FF 00000900
	s_cmp_eq_i32 s7, 1                                         // 0000000029FC: BF008107
	s_cbranch_scc0 label_01D4                                  // 000000002A00: BF840013
	ds_read_b128 a[0:3], v29 offset:12416                      // 000000002A04: DBFE3080 0000001D
	ds_read_b128 a[4:7], v29 offset:12480                      // 000000002A0C: DBFE30C0 0400001D
	ds_read_b128 a[8:11], v29 offset:12544                     // 000000002A14: DBFE3100 0800001D
	ds_read_b128 a[12:15], v29 offset:12608                    // 000000002A1C: DBFE3140 0C00001D
	ds_read_b128 a[16:19], v29 offset:12672                    // 000000002A24: DBFE3180 1000001D
	ds_read_b128 a[20:23], v29 offset:12736                    // 000000002A2C: DBFE31C0 1400001D
	ds_read_b128 a[24:27], v29 offset:12800                    // 000000002A34: DBFE3200 1800001D
	ds_read_b128 a[28:31], v29 offset:12864                    // 000000002A3C: DBFE3240 1C00001D
	ds_read_b128 a[32:35], v29 offset:12928                    // 000000002A44: DBFE3280 2000001D
	s_waitcnt lgkmcnt(0)                                       // 000000002A4C: BF8CC07F

0000000000002a50 <label_01D4>:
	s_waitcnt vmcnt(12)                                        // 000000002A50: BF8C0F7C
	s_barrier                                                  // 000000002A54: BF8A0000
	s_mov_b32 m0, s35                                          // 000000002A58: BEFC0023
	v_add_u32_e32 v28, 0x9000, v30                             // 000000002A5C: 68383CFF 00009000
	buffer_load_dword v28, s[16:19], 0 offen lds               // 000000002A64: E0511000 8004001C
	buffer_load_dword v28, s[16:19], 0 offen offset:256 lds    // 000000002A6C: E0511100 8004001C
	buffer_load_dword v28, s[16:19], 0 offen offset:512 lds    // 000000002A74: E0511200 8004001C
	s_add_u32 m0, m0, 0x300                                    // 000000002A7C: 807CFF7C 00000300
	v_add_u32_e32 v28, 0x900, v28                              // 000000002A84: 683838FF 00000900
	buffer_load_dword v28, s[16:19], 0 offen lds               // 000000002A8C: E0511000 8004001C
	buffer_load_dword v28, s[16:19], 0 offen offset:256 lds    // 000000002A94: E0511100 8004001C
	buffer_load_dword v28, s[16:19], 0 offen offset:512 lds    // 000000002A9C: E0511200 8004001C
	s_add_u32 m0, m0, 0x300                                    // 000000002AA4: 807CFF7C 00000300
	v_add_u32_e32 v28, 0x900, v28                              // 000000002AAC: 683838FF 00000900
	buffer_load_dword v28, s[16:19], 0 offen lds               // 000000002AB4: E0511000 8004001C
	buffer_load_dword v28, s[16:19], 0 offen offset:256 lds    // 000000002ABC: E0511100 8004001C
	buffer_load_dword v28, s[16:19], 0 offen offset:512 lds    // 000000002AC4: E0511200 8004001C
	s_add_u32 m0, m0, 0x300                                    // 000000002ACC: 807CFF7C 00000300
	v_add_u32_e32 v28, 0x900, v28                              // 000000002AD4: 683838FF 00000900
	buffer_load_dword v28, s[16:19], 0 offen lds               // 000000002ADC: E0511000 8004001C
	buffer_load_dword v28, s[16:19], 0 offen offset:256 lds    // 000000002AE4: E0511100 8004001C
	buffer_load_dword v28, s[16:19], 0 offen offset:512 lds    // 000000002AEC: E0511200 8004001C
	s_add_u32 m0, m0, 0x300                                    // 000000002AF4: 807CFF7C 00000300
	v_add_u32_e32 v28, 0x900, v28                              // 000000002AFC: 683838FF 00000900
	s_cmp_eq_i32 s7, 2                                         // 000000002B04: BF008207
	s_cbranch_scc0 label_0216                                  // 000000002B08: BF840013
	ds_read_b128 a[0:3], v29 offset:24832                      // 000000002B0C: DBFE6100 0000001D
	ds_read_b128 a[4:7], v29 offset:24896                      // 000000002B14: DBFE6140 0400001D
	ds_read_b128 a[8:11], v29 offset:24960                     // 000000002B1C: DBFE6180 0800001D
	ds_read_b128 a[12:15], v29 offset:25024                    // 000000002B24: DBFE61C0 0C00001D
	ds_read_b128 a[16:19], v29 offset:25088                    // 000000002B2C: DBFE6200 1000001D
	ds_read_b128 a[20:23], v29 offset:25152                    // 000000002B34: DBFE6240 1400001D
	ds_read_b128 a[24:27], v29 offset:25216                    // 000000002B3C: DBFE6280 1800001D
	ds_read_b128 a[28:31], v29 offset:25280                    // 000000002B44: DBFE62C0 1C00001D
	ds_read_b128 a[32:35], v29 offset:25344                    // 000000002B4C: DBFE6300 2000001D
	s_waitcnt lgkmcnt(0)                                       // 000000002B54: BF8CC07F

0000000000002b58 <label_0216>:
	s_waitcnt vmcnt(12)                                        // 000000002B58: BF8C0F7C
	s_barrier                                                  // 000000002B5C: BF8A0000
	s_mov_b32 m0, s36                                          // 000000002B60: BEFC0024
	v_add_u32_e32 v28, 0xb400, v30                             // 000000002B64: 68383CFF 0000B400
	buffer_load_dword v28, s[16:19], 0 offen lds               // 000000002B6C: E0511000 8004001C
	buffer_load_dword v28, s[16:19], 0 offen offset:256 lds    // 000000002B74: E0511100 8004001C
	buffer_load_dword v28, s[16:19], 0 offen offset:512 lds    // 000000002B7C: E0511200 8004001C
	s_add_u32 m0, m0, 0x300                                    // 000000002B84: 807CFF7C 00000300
	v_add_u32_e32 v28, 0x900, v28                              // 000000002B8C: 683838FF 00000900
	buffer_load_dword v28, s[16:19], 0 offen lds               // 000000002B94: E0511000 8004001C
	buffer_load_dword v28, s[16:19], 0 offen offset:256 lds    // 000000002B9C: E0511100 8004001C
	buffer_load_dword v28, s[16:19], 0 offen offset:512 lds    // 000000002BA4: E0511200 8004001C
	s_add_u32 m0, m0, 0x300                                    // 000000002BAC: 807CFF7C 00000300
	v_add_u32_e32 v28, 0x900, v28                              // 000000002BB4: 683838FF 00000900
	buffer_load_dword v28, s[16:19], 0 offen lds               // 000000002BBC: E0511000 8004001C
	buffer_load_dword v28, s[16:19], 0 offen offset:256 lds    // 000000002BC4: E0511100 8004001C
	buffer_load_dword v28, s[16:19], 0 offen offset:512 lds    // 000000002BCC: E0511200 8004001C
	s_add_u32 m0, m0, 0x300                                    // 000000002BD4: 807CFF7C 00000300
	v_add_u32_e32 v28, 0x900, v28                              // 000000002BDC: 683838FF 00000900
	buffer_load_dword v28, s[16:19], 0 offen lds               // 000000002BE4: E0511000 8004001C
	buffer_load_dword v28, s[16:19], 0 offen offset:256 lds    // 000000002BEC: E0511100 8004001C
	buffer_load_dword v28, s[16:19], 0 offen offset:512 lds    // 000000002BF4: E0511200 8004001C
	s_add_u32 m0, m0, 0x300                                    // 000000002BFC: 807CFF7C 00000300
	v_add_u32_e32 v28, 0x900, v28                              // 000000002C04: 683838FF 00000900
	s_cmp_eq_i32 s7, 3                                         // 000000002C0C: BF008307
	s_cbranch_scc0 label_0258                                  // 000000002C10: BF840013
	ds_read_b128 a[0:3], v29                                   // 000000002C14: DBFE0000 0000001D
	ds_read_b128 a[4:7], v29 offset:64                         // 000000002C1C: DBFE0040 0400001D
	ds_read_b128 a[8:11], v29 offset:128                       // 000000002C24: DBFE0080 0800001D
	ds_read_b128 a[12:15], v29 offset:192                      // 000000002C2C: DBFE00C0 0C00001D
	ds_read_b128 a[16:19], v29 offset:256                      // 000000002C34: DBFE0100 1000001D
	ds_read_b128 a[20:23], v29 offset:320                      // 000000002C3C: DBFE0140 1400001D
	ds_read_b128 a[24:27], v29 offset:384                      // 000000002C44: DBFE0180 1800001D
	ds_read_b128 a[28:31], v29 offset:448                      // 000000002C4C: DBFE01C0 1C00001D
	ds_read_b128 a[32:35], v29 offset:512                      // 000000002C54: DBFE0200 2000001D
	s_waitcnt lgkmcnt(0)                                       // 000000002C5C: BF8CC07F

0000000000002c60 <label_0258>:
	s_waitcnt vmcnt(12)                                        // 000000002C60: BF8C0F7C
	s_barrier                                                  // 000000002C64: BF8A0000
	s_mov_b32 m0, s34                                          // 000000002C68: BEFC0022
	v_add_u32_e32 v28, 0xd800, v30                             // 000000002C6C: 68383CFF 0000D800
	buffer_load_dword v28, s[16:19], 0 offen lds               // 000000002C74: E0511000 8004001C
	buffer_load_dword v28, s[16:19], 0 offen offset:256 lds    // 000000002C7C: E0511100 8004001C
	buffer_load_dword v28, s[16:19], 0 offen offset:512 lds    // 000000002C84: E0511200 8004001C
	s_add_u32 m0, m0, 0x300                                    // 000000002C8C: 807CFF7C 00000300
	v_add_u32_e32 v28, 0x900, v28                              // 000000002C94: 683838FF 00000900
	buffer_load_dword v28, s[16:19], 0 offen lds               // 000000002C9C: E0511000 8004001C
	buffer_load_dword v28, s[16:19], 0 offen offset:256 lds    // 000000002CA4: E0511100 8004001C
	buffer_load_dword v28, s[16:19], 0 offen offset:512 lds    // 000000002CAC: E0511200 8004001C
	s_add_u32 m0, m0, 0x300                                    // 000000002CB4: 807CFF7C 00000300
	v_add_u32_e32 v28, 0x900, v28                              // 000000002CBC: 683838FF 00000900
	buffer_load_dword v28, s[16:19], 0 offen lds               // 000000002CC4: E0511000 8004001C
	buffer_load_dword v28, s[16:19], 0 offen offset:256 lds    // 000000002CCC: E0511100 8004001C
	buffer_load_dword v28, s[16:19], 0 offen offset:512 lds    // 000000002CD4: E0511200 8004001C
	s_add_u32 m0, m0, 0x300                                    // 000000002CDC: 807CFF7C 00000300
	v_add_u32_e32 v28, 0x900, v28                              // 000000002CE4: 683838FF 00000900
	buffer_load_dword v28, s[16:19], 0 offen lds               // 000000002CEC: E0511000 8004001C
	buffer_load_dword v28, s[16:19], 0 offen offset:256 lds    // 000000002CF4: E0511100 8004001C
	buffer_load_dword v28, s[16:19], 0 offen offset:512 lds    // 000000002CFC: E0511200 8004001C
	s_add_u32 m0, m0, 0x300                                    // 000000002D04: 807CFF7C 00000300
	v_add_u32_e32 v28, 0x900, v28                              // 000000002D0C: 683838FF 00000900
	s_cmp_eq_i32 s7, 0                                         // 000000002D14: BF008007
	s_cbranch_scc0 label_029A                                  // 000000002D18: BF840013
	ds_read_b128 a[36:39], v29 offset:12416                    // 000000002D1C: DBFE3080 2400001D
	ds_read_b128 a[40:43], v29 offset:12480                    // 000000002D24: DBFE30C0 2800001D
	ds_read_b128 a[44:47], v29 offset:12544                    // 000000002D2C: DBFE3100 2C00001D
	ds_read_b128 a[48:51], v29 offset:12608                    // 000000002D34: DBFE3140 3000001D
	ds_read_b128 a[52:55], v29 offset:12672                    // 000000002D3C: DBFE3180 3400001D
	ds_read_b128 a[56:59], v29 offset:12736                    // 000000002D44: DBFE31C0 3800001D
	ds_read_b128 a[60:63], v29 offset:12800                    // 000000002D4C: DBFE3200 3C00001D
	ds_read_b128 a[64:67], v29 offset:12864                    // 000000002D54: DBFE3240 4000001D
	ds_read_b128 a[68:71], v29 offset:12928                    // 000000002D5C: DBFE3280 4400001D
	s_waitcnt lgkmcnt(0)                                       // 000000002D64: BF8CC07F

0000000000002d68 <label_029A>:
	s_waitcnt vmcnt(12)                                        // 000000002D68: BF8C0F7C
	s_barrier                                                  // 000000002D6C: BF8A0000
	s_mov_b32 m0, s35                                          // 000000002D70: BEFC0023
	v_add_u32_e32 v28, 0xfc00, v30                             // 000000002D74: 68383CFF 0000FC00
	buffer_load_dword v28, s[16:19], 0 offen lds               // 000000002D7C: E0511000 8004001C
	buffer_load_dword v28, s[16:19], 0 offen offset:256 lds    // 000000002D84: E0511100 8004001C
	buffer_load_dword v28, s[16:19], 0 offen offset:512 lds    // 000000002D8C: E0511200 8004001C
	s_add_u32 m0, m0, 0x300                                    // 000000002D94: 807CFF7C 00000300
	v_add_u32_e32 v28, 0x900, v28                              // 000000002D9C: 683838FF 00000900
	buffer_load_dword v28, s[16:19], 0 offen lds               // 000000002DA4: E0511000 8004001C
	buffer_load_dword v28, s[16:19], 0 offen offset:256 lds    // 000000002DAC: E0511100 8004001C
	buffer_load_dword v28, s[16:19], 0 offen offset:512 lds    // 000000002DB4: E0511200 8004001C
	s_add_u32 m0, m0, 0x300                                    // 000000002DBC: 807CFF7C 00000300
	v_add_u32_e32 v28, 0x900, v28                              // 000000002DC4: 683838FF 00000900
	buffer_load_dword v28, s[16:19], 0 offen lds               // 000000002DCC: E0511000 8004001C
	buffer_load_dword v28, s[16:19], 0 offen offset:256 lds    // 000000002DD4: E0511100 8004001C
	buffer_load_dword v28, s[16:19], 0 offen offset:512 lds    // 000000002DDC: E0511200 8004001C
	s_add_u32 m0, m0, 0x300                                    // 000000002DE4: 807CFF7C 00000300
	v_add_u32_e32 v28, 0x900, v28                              // 000000002DEC: 683838FF 00000900
	buffer_load_dword v28, s[16:19], 0 offen lds               // 000000002DF4: E0511000 8004001C
	buffer_load_dword v28, s[16:19], 0 offen offset:256 lds    // 000000002DFC: E0511100 8004001C
	buffer_load_dword v28, s[16:19], 0 offen offset:512 lds    // 000000002E04: E0511200 8004001C
	s_add_u32 m0, m0, 0x300                                    // 000000002E0C: 807CFF7C 00000300
	v_add_u32_e32 v28, 0x900, v28                              // 000000002E14: 683838FF 00000900
	s_cmp_eq_i32 s7, 1                                         // 000000002E1C: BF008107
	s_cbranch_scc0 label_02DC                                  // 000000002E20: BF840013
	ds_read_b128 a[36:39], v29 offset:24832                    // 000000002E24: DBFE6100 2400001D
	ds_read_b128 a[40:43], v29 offset:24896                    // 000000002E2C: DBFE6140 2800001D
	ds_read_b128 a[44:47], v29 offset:24960                    // 000000002E34: DBFE6180 2C00001D
	ds_read_b128 a[48:51], v29 offset:25024                    // 000000002E3C: DBFE61C0 3000001D
	ds_read_b128 a[52:55], v29 offset:25088                    // 000000002E44: DBFE6200 3400001D
	ds_read_b128 a[56:59], v29 offset:25152                    // 000000002E4C: DBFE6240 3800001D
	ds_read_b128 a[60:63], v29 offset:25216                    // 000000002E54: DBFE6280 3C00001D
	ds_read_b128 a[64:67], v29 offset:25280                    // 000000002E5C: DBFE62C0 4000001D
	ds_read_b128 a[68:71], v29 offset:25344                    // 000000002E64: DBFE6300 4400001D
	s_waitcnt lgkmcnt(0)                                       // 000000002E6C: BF8CC07F

0000000000002e70 <label_02DC>:
	s_waitcnt vmcnt(12)                                        // 000000002E70: BF8C0F7C
	s_barrier                                                  // 000000002E74: BF8A0000
	s_cmp_eq_i32 s7, 2                                         // 000000002E78: BF008207
	s_cbranch_scc0 label_02F3                                  // 000000002E7C: BF840013
	ds_read_b128 a[36:39], v29                                 // 000000002E80: DBFE0000 2400001D
	ds_read_b128 a[40:43], v29 offset:64                       // 000000002E88: DBFE0040 2800001D
	ds_read_b128 a[44:47], v29 offset:128                      // 000000002E90: DBFE0080 2C00001D
	ds_read_b128 a[48:51], v29 offset:192                      // 000000002E98: DBFE00C0 3000001D
	ds_read_b128 a[52:55], v29 offset:256                      // 000000002EA0: DBFE0100 3400001D
	ds_read_b128 a[56:59], v29 offset:320                      // 000000002EA8: DBFE0140 3800001D
	ds_read_b128 a[60:63], v29 offset:384                      // 000000002EB0: DBFE0180 3C00001D
	ds_read_b128 a[64:67], v29 offset:448                      // 000000002EB8: DBFE01C0 4000001D
	ds_read_b128 a[68:71], v29 offset:512                      // 000000002EC0: DBFE0200 4400001D
	s_waitcnt lgkmcnt(0)                                       // 000000002EC8: BF8CC07F

0000000000002ecc <label_02F3>:
	s_waitcnt vmcnt(0)                                         // 000000002ECC: BF8C0F70
	s_barrier                                                  // 000000002ED0: BF8A0000
	s_cmp_eq_i32 s7, 3                                         // 000000002ED4: BF008307
	s_cbranch_scc0 label_030A                                  // 000000002ED8: BF840013
	ds_read_b128 a[36:39], v29 offset:12416                    // 000000002EDC: DBFE3080 2400001D
	ds_read_b128 a[40:43], v29 offset:12480                    // 000000002EE4: DBFE30C0 2800001D
	ds_read_b128 a[44:47], v29 offset:12544                    // 000000002EEC: DBFE3100 2C00001D
	ds_read_b128 a[48:51], v29 offset:12608                    // 000000002EF4: DBFE3140 3000001D
	ds_read_b128 a[52:55], v29 offset:12672                    // 000000002EFC: DBFE3180 3400001D
	ds_read_b128 a[56:59], v29 offset:12736                    // 000000002F04: DBFE31C0 3800001D
	ds_read_b128 a[60:63], v29 offset:12800                    // 000000002F0C: DBFE3200 3C00001D
	ds_read_b128 a[64:67], v29 offset:12864                    // 000000002F14: DBFE3240 4000001D
	ds_read_b128 a[68:71], v29 offset:12928                    // 000000002F1C: DBFE3280 4400001D
	s_waitcnt lgkmcnt(0)                                       // 000000002F24: BF8CC07F

0000000000002f28 <label_030A>:
	s_waitcnt vmcnt(0)                                         // 000000002F28: BF8C0F70
	s_barrier                                                  // 000000002F2C: BF8A0000
	s_mov_b32 s51, 0x7060302                                   // 000000002F30: BEB300FF 07060302
	s_mov_b32 s52, 0x6020400                                   // 000000002F38: BEB400FF 06020400
	s_mov_b32 s53, 0x7030501                                   // 000000002F40: BEB500FF 07030501
	s_mov_b32 s54, 0x5010400                                   // 000000002F48: BEB600FF 05010400
	s_mov_b32 s55, 0x7030602                                   // 000000002F50: BEB700FF 07030602
	s_mov_b32 s6, 0x3fb8aa3b                                   // 000000002F58: BE8600FF 3FB8AA3B
	v_mov_b32_e32 v21, s6                                      // 000000002F60: 7E2A0206
	v_mov_b32_e32 v20, s64                                     // 000000002F64: 7E280240
	v_mul_f32_e32 v20, s6, v20                                 // 000000002F68: 0A282806
	v_rcp_f32_e32 v21, v21                                     // 000000002F6C: 7E2A4515
	v_mov_b32_e32 v12, 0xff7fffff                              // 000000002F70: 7E1802FF FF7FFFFF
	v_mov_b32_e32 v13, 0xff7fffff                              // 000000002F78: 7E1A02FF FF7FFFFF
	v_mov_b32_e32 v16, 0                                       // 000000002F80: 7E200280
	v_mov_b32_e32 v17, 0                                       // 000000002F84: 7E220280
	v_mov_b32_e32 v14, 0                                       // 000000002F88: 7E1C0280
	v_mov_b32_e32 v15, 0                                       // 000000002F8C: 7E1E0280
	v_mov_b32_e32 v9, s68                                      // 000000002F90: 7E120244
	v_readfirstlane_b32 s5, v20                                // 000000002F94: 7E0A0514
	v_readfirstlane_b32 s63, v21                               // 000000002F98: 7E7E0515
	v_mov_b32_e32 v20, s42                                     // 000000002F9C: 7E28022A
	v_mul_f32_e32 v20, s43, v20                                // 000000002FA0: 0A28282B
	v_mul_f32_e32 v21, s5, v20                                 // 000000002FA4: 0A2A2805
	v_mul_f32_e32 v23, s64, v20                                // 000000002FA8: 0A2E2840
	v_readfirstlane_b32 s5, v21                                // 000000002FAC: 7E0A0515
	v_readfirstlane_b32 s64, v23                               // 000000002FB0: 7E800517
	v_and_b32_e32 v2, 15, v0                                   // 000000002FB4: 2604008F
	v_lshlrev_b32_e32 v2, 2, v2                                // 000000002FB8: 24040482
	s_mul_i32 s56, 0x100, s7                                   // 000000002FBC: 923807FF 00000100
	v_add_u32_e32 v2, s56, v2                                  // 000000002FC4: 68040438
	v_lshlrev_b32_e32 v3, 2, v0                                // 000000002FC8: 24060082
	s_mul_i32 s56, 0x100, s7                                   // 000000002FCC: 923807FF 00000100
	v_add_u32_e32 v3, s56, v3                                  // 000000002FD4: 68060638
	v_and_b32_e32 v20, 15, v0                                  // 000000002FD8: 2628008F
	v_lshlrev_b32_e32 v1, 2, v20                               // 000000002FDC: 24022882
	s_mul_i32 s34, s7, 0x1220                                  // 000000002FE0: 9222FF07 00001220
	s_add_u32 s34, 0, s34                                      // 000000002FE8: 80222280
	s_add_u32 s35, 0x900, s34                                  // 000000002FEC: 802322FF 00000900
	s_add_u32 s36, 0x4880, s34                                 // 000000002FF4: 802422FF 00004880
	s_add_u32 s37, 0x4880, s35                                 // 000000002FFC: 802523FF 00004880
	s_waitcnt vmcnt(0)                                         // 000000003004: BF8C0F70
	v_mul_u32_u24_dpp v18, v10, v9 row_newbcast:0 row_mask:0xf bank_mask:0xf// 000000003008: 102412FA FF01500A
	v_mul_u32_u24_dpp v19, v10, v9 row_newbcast:8 row_mask:0xf bank_mask:0xf// 000000003010: 102612FA FF01580A
	v_add_u32_e32 v18, v18, v1                                 // 000000003018: 68240312
	v_add_u32_e32 v19, v19, v1                                 // 00000000301C: 68260313
	s_mov_b32 m0, s34                                          // 000000003020: BEFC0022
	buffer_load_dword v18, s[20:23], 0 offen lds               // 000000003024: E0511000 80050012
	s_add_u32 m0, 0, s35                                       // 00000000302C: 807C2380
	buffer_load_dword v19, s[20:23], 0 offen lds               // 000000003030: E0511000 80050013
	s_add_u32 m0, 0xc0, s34                                    // 000000003038: 807C22FF 000000C0
	buffer_load_dword v18, s[20:23], 0 offen offset:64 lds     // 000000003040: E0511040 80050012
	s_add_u32 m0, 0xc0, s35                                    // 000000003048: 807C23FF 000000C0
	buffer_load_dword v19, s[20:23], 0 offen offset:64 lds     // 000000003050: E0511040 80050013
	s_add_u32 m0, 0x180, s34                                   // 000000003058: 807C22FF 00000180
	buffer_load_dword v18, s[20:23], 0 offen offset:128 lds    // 000000003060: E0511080 80050012
	s_add_u32 m0, 0x180, s35                                   // 000000003068: 807C23FF 00000180
	buffer_load_dword v19, s[20:23], 0 offen offset:128 lds    // 000000003070: E0511080 80050013
	s_add_u32 m0, 0x240, s34                                   // 000000003078: 807C22FF 00000240
	buffer_load_dword v18, s[20:23], 0 offen offset:192 lds    // 000000003080: E05110C0 80050012
	s_add_u32 m0, 0x240, s35                                   // 000000003088: 807C23FF 00000240
	buffer_load_dword v19, s[20:23], 0 offen offset:192 lds    // 000000003090: E05110C0 80050013
	s_add_u32 m0, 0x300, s34                                   // 000000003098: 807C22FF 00000300
	buffer_load_dword v18, s[20:23], 0 offen offset:256 lds    // 0000000030A0: E0511100 80050012
	s_add_u32 m0, 0x300, s35                                   // 0000000030A8: 807C23FF 00000300
	buffer_load_dword v19, s[20:23], 0 offen offset:256 lds    // 0000000030B0: E0511100 80050013
	s_add_u32 m0, 0x3c0, s34                                   // 0000000030B8: 807C22FF 000003C0
	buffer_load_dword v18, s[20:23], 0 offen offset:320 lds    // 0000000030C0: E0511140 80050012
	s_add_u32 m0, 0x3c0, s35                                   // 0000000030C8: 807C23FF 000003C0
	buffer_load_dword v19, s[20:23], 0 offen offset:320 lds    // 0000000030D0: E0511140 80050013
	s_add_u32 m0, 0x480, s34                                   // 0000000030D8: 807C22FF 00000480
	buffer_load_dword v18, s[20:23], 0 offen offset:384 lds    // 0000000030E0: E0511180 80050012
	s_add_u32 m0, 0x480, s35                                   // 0000000030E8: 807C23FF 00000480
	buffer_load_dword v19, s[20:23], 0 offen offset:384 lds    // 0000000030F0: E0511180 80050013
	s_add_u32 m0, 0x540, s34                                   // 0000000030F8: 807C22FF 00000540
	buffer_load_dword v18, s[20:23], 0 offen offset:448 lds    // 000000003100: E05111C0 80050012
	s_add_u32 m0, 0x540, s35                                   // 000000003108: 807C23FF 00000540
	buffer_load_dword v19, s[20:23], 0 offen offset:448 lds    // 000000003110: E05111C0 80050013
	s_add_u32 m0, 0x600, s34                                   // 000000003118: 807C22FF 00000600
	buffer_load_dword v18, s[20:23], 0 offen offset:512 lds    // 000000003120: E0511200 80050012
	s_add_u32 m0, 0x600, s35                                   // 000000003128: 807C23FF 00000600
	buffer_load_dword v19, s[20:23], 0 offen offset:512 lds    // 000000003130: E0511200 80050013
	s_add_u32 m0, 0x6c0, s34                                   // 000000003138: 807C22FF 000006C0
	buffer_load_dword v10, v8, s[24:27], 0 offen               // 000000003140: E0501000 80060A08
	v_add_u32_e32 v8, s73, v8                                  // 000000003148: 68101049
	v_mov_b32_e32 v56, 0                                       // 00000000314C: 7E700280
	v_mov_b32_e32 v57, 0                                       // 000000003150: 7E720280
	v_mov_b32_e32 v58, 0                                       // 000000003154: 7E740280
	v_mov_b32_e32 v59, 0                                       // 000000003158: 7E760280
	v_mov_b32_e32 v60, 0                                       // 00000000315C: 7E780280
	v_mov_b32_e32 v61, 0                                       // 000000003160: 7E7A0280
	v_mov_b32_e32 v62, 0                                       // 000000003164: 7E7C0280
	v_mov_b32_e32 v63, 0                                       // 000000003168: 7E7E0280
	v_mov_b32_e32 v64, 0                                       // 00000000316C: 7E800280
	v_mov_b32_e32 v65, 0                                       // 000000003170: 7E820280
	v_mov_b32_e32 v66, 0                                       // 000000003174: 7E840280
	v_mov_b32_e32 v67, 0                                       // 000000003178: 7E860280
	v_mov_b32_e32 v68, 0                                       // 00000000317C: 7E880280
	v_mov_b32_e32 v69, 0                                       // 000000003180: 7E8A0280
	v_mov_b32_e32 v70, 0                                       // 000000003184: 7E8C0280
	v_mov_b32_e32 v71, 0                                       // 000000003188: 7E8E0280
	v_mov_b32_e32 v72, 0                                       // 00000000318C: 7E900280
	v_mov_b32_e32 v73, 0                                       // 000000003190: 7E920280
	v_mov_b32_e32 v74, 0                                       // 000000003194: 7E940280
	v_mov_b32_e32 v75, 0                                       // 000000003198: 7E960280
	v_mov_b32_e32 v76, 0                                       // 00000000319C: 7E980280
	v_mov_b32_e32 v77, 0                                       // 0000000031A0: 7E9A0280
	v_mov_b32_e32 v78, 0                                       // 0000000031A4: 7E9C0280
	v_mov_b32_e32 v79, 0                                       // 0000000031A8: 7E9E0280
	v_mov_b32_e32 v80, 0                                       // 0000000031AC: 7EA00280
	v_mov_b32_e32 v81, 0                                       // 0000000031B0: 7EA20280
	v_mov_b32_e32 v82, 0                                       // 0000000031B4: 7EA40280
	v_mov_b32_e32 v83, 0                                       // 0000000031B8: 7EA60280
	v_mov_b32_e32 v84, 0                                       // 0000000031BC: 7EA80280
	v_mov_b32_e32 v85, 0                                       // 0000000031C0: 7EAA0280
	v_mov_b32_e32 v86, 0                                       // 0000000031C4: 7EAC0280
	v_mov_b32_e32 v87, 0                                       // 0000000031C8: 7EAE0280
	v_mov_b32_e32 v88, 0                                       // 0000000031CC: 7EB00280
	v_mov_b32_e32 v89, 0                                       // 0000000031D0: 7EB20280
	v_mov_b32_e32 v90, 0                                       // 0000000031D4: 7EB40280
	v_mov_b32_e32 v91, 0                                       // 0000000031D8: 7EB60280
	v_mov_b32_e32 v92, 0                                       // 0000000031DC: 7EB80280
	v_mov_b32_e32 v93, 0                                       // 0000000031E0: 7EBA0280
	v_mov_b32_e32 v94, 0                                       // 0000000031E4: 7EBC0280
	v_mov_b32_e32 v95, 0                                       // 0000000031E8: 7EBE0280
	v_mov_b32_e32 v96, 0                                       // 0000000031EC: 7EC00280
	v_mov_b32_e32 v97, 0                                       // 0000000031F0: 7EC20280
	v_mov_b32_e32 v98, 0                                       // 0000000031F4: 7EC40280
	v_mov_b32_e32 v99, 0                                       // 0000000031F8: 7EC60280
	v_mov_b32_e32 v100, 0                                      // 0000000031FC: 7EC80280
	v_mov_b32_e32 v101, 0                                      // 000000003200: 7ECA0280
	v_mov_b32_e32 v102, 0                                      // 000000003204: 7ECC0280
	v_mov_b32_e32 v103, 0                                      // 000000003208: 7ECE0280
	v_mov_b32_e32 v104, 0                                      // 00000000320C: 7ED00280
	v_mov_b32_e32 v105, 0                                      // 000000003210: 7ED20280
	v_mov_b32_e32 v106, 0                                      // 000000003214: 7ED40280
	v_mov_b32_e32 v107, 0                                      // 000000003218: 7ED60280
	v_mov_b32_e32 v108, 0                                      // 00000000321C: 7ED80280
	v_mov_b32_e32 v109, 0                                      // 000000003220: 7EDA0280
	v_mov_b32_e32 v110, 0                                      // 000000003224: 7EDC0280
	v_mov_b32_e32 v111, 0                                      // 000000003228: 7EDE0280
	v_mov_b32_e32 v112, 0                                      // 00000000322C: 7EE00280
	v_mov_b32_e32 v113, 0                                      // 000000003230: 7EE20280
	v_mov_b32_e32 v114, 0                                      // 000000003234: 7EE40280
	v_mov_b32_e32 v115, 0                                      // 000000003238: 7EE60280
	v_mov_b32_e32 v116, 0                                      // 00000000323C: 7EE80280
	v_mov_b32_e32 v117, 0                                      // 000000003240: 7EEA0280
	v_mov_b32_e32 v118, 0                                      // 000000003244: 7EEC0280
	v_mov_b32_e32 v119, 0                                      // 000000003248: 7EEE0280
	v_mov_b32_e32 v120, 0                                      // 00000000324C: 7EF00280
	v_mov_b32_e32 v121, 0                                      // 000000003250: 7EF20280
	v_mov_b32_e32 v122, 0                                      // 000000003254: 7EF40280
	v_mov_b32_e32 v123, 0                                      // 000000003258: 7EF60280
	v_mov_b32_e32 v124, 0                                      // 00000000325C: 7EF80280
	v_mov_b32_e32 v125, 0                                      // 000000003260: 7EFA0280
	v_mov_b32_e32 v126, 0                                      // 000000003264: 7EFC0280
	v_mov_b32_e32 v127, 0                                      // 000000003268: 7EFE0280
	v_mov_b32_e32 v128, 0                                      // 00000000326C: 7F000280
	v_mov_b32_e32 v129, 0                                      // 000000003270: 7F020280
	v_mov_b32_e32 v130, 0                                      // 000000003274: 7F040280
	v_mov_b32_e32 v131, 0                                      // 000000003278: 7F060280
	v_mov_b32_e32 v132, 0                                      // 00000000327C: 7F080280
	v_mov_b32_e32 v133, 0                                      // 000000003280: 7F0A0280
	v_mov_b32_e32 v134, 0                                      // 000000003284: 7F0C0280
	v_mov_b32_e32 v135, 0                                      // 000000003288: 7F0E0280
	v_mov_b32_e32 v136, 0                                      // 00000000328C: 7F100280
	v_mov_b32_e32 v137, 0                                      // 000000003290: 7F120280
	v_mov_b32_e32 v138, 0                                      // 000000003294: 7F140280
	v_mov_b32_e32 v139, 0                                      // 000000003298: 7F160280
	v_mov_b32_e32 v140, 0                                      // 00000000329C: 7F180280
	v_mov_b32_e32 v141, 0                                      // 0000000032A0: 7F1A0280
	v_mov_b32_e32 v142, 0                                      // 0000000032A4: 7F1C0280
	v_mov_b32_e32 v143, 0                                      // 0000000032A8: 7F1E0280
	v_mov_b32_e32 v144, 0                                      // 0000000032AC: 7F200280
	v_mov_b32_e32 v145, 0                                      // 0000000032B0: 7F220280
	v_mov_b32_e32 v146, 0                                      // 0000000032B4: 7F240280
	v_mov_b32_e32 v147, 0                                      // 0000000032B8: 7F260280
	v_mov_b32_e32 v148, 0                                      // 0000000032BC: 7F280280
	v_mov_b32_e32 v149, 0                                      // 0000000032C0: 7F2A0280
	v_mov_b32_e32 v150, 0                                      // 0000000032C4: 7F2C0280
	v_mov_b32_e32 v151, 0                                      // 0000000032C8: 7F2E0280
	v_mov_b32_e32 v152, 0                                      // 0000000032CC: 7F300280
	v_mov_b32_e32 v153, 0                                      // 0000000032D0: 7F320280
	v_mov_b32_e32 v154, 0                                      // 0000000032D4: 7F340280
	v_mov_b32_e32 v155, 0                                      // 0000000032D8: 7F360280
	v_mov_b32_e32 v156, 0                                      // 0000000032DC: 7F380280
	v_mov_b32_e32 v157, 0                                      // 0000000032E0: 7F3A0280
	v_mov_b32_e32 v158, 0                                      // 0000000032E4: 7F3C0280
	v_mov_b32_e32 v159, 0                                      // 0000000032E8: 7F3E0280
	v_mov_b32_e32 v160, 0                                      // 0000000032EC: 7F400280
	v_mov_b32_e32 v161, 0                                      // 0000000032F0: 7F420280
	v_mov_b32_e32 v162, 0                                      // 0000000032F4: 7F440280
	v_mov_b32_e32 v163, 0                                      // 0000000032F8: 7F460280
	v_mov_b32_e32 v164, 0                                      // 0000000032FC: 7F480280
	v_mov_b32_e32 v165, 0                                      // 000000003300: 7F4A0280
	v_mov_b32_e32 v166, 0                                      // 000000003304: 7F4C0280
	v_mov_b32_e32 v167, 0                                      // 000000003308: 7F4E0280
	v_mov_b32_e32 v168, 0                                      // 00000000330C: 7F500280
	v_mov_b32_e32 v169, 0                                      // 000000003310: 7F520280
	v_mov_b32_e32 v170, 0                                      // 000000003314: 7F540280
	v_mov_b32_e32 v171, 0                                      // 000000003318: 7F560280
	v_mov_b32_e32 v172, 0                                      // 00000000331C: 7F580280
	v_mov_b32_e32 v173, 0                                      // 000000003320: 7F5A0280
	v_mov_b32_e32 v174, 0                                      // 000000003324: 7F5C0280
	v_mov_b32_e32 v175, 0                                      // 000000003328: 7F5E0280
	v_mov_b32_e32 v176, 0                                      // 00000000332C: 7F600280
	v_mov_b32_e32 v177, 0                                      // 000000003330: 7F620280
	v_mov_b32_e32 v178, 0                                      // 000000003334: 7F640280
	v_mov_b32_e32 v179, 0                                      // 000000003338: 7F660280
	v_mov_b32_e32 v180, 0                                      // 00000000333C: 7F680280
	v_mov_b32_e32 v181, 0                                      // 000000003340: 7F6A0280
	v_mov_b32_e32 v182, 0                                      // 000000003344: 7F6C0280
	v_mov_b32_e32 v183, 0                                      // 000000003348: 7F6E0280
	v_mov_b32_e32 v184, 0                                      // 00000000334C: 7F700280
	v_mov_b32_e32 v185, 0                                      // 000000003350: 7F720280
	v_mov_b32_e32 v186, 0                                      // 000000003354: 7F740280
	v_mov_b32_e32 v187, 0                                      // 000000003358: 7F760280
	v_mov_b32_e32 v188, 0                                      // 00000000335C: 7F780280
	v_mov_b32_e32 v189, 0                                      // 000000003360: 7F7A0280
	v_mov_b32_e32 v190, 0                                      // 000000003364: 7F7C0280
	v_mov_b32_e32 v191, 0                                      // 000000003368: 7F7E0280
	v_mov_b32_e32 v192, 0                                      // 00000000336C: 7F800280
	v_mov_b32_e32 v193, 0                                      // 000000003370: 7F820280
	v_mov_b32_e32 v194, 0                                      // 000000003374: 7F840280
	v_mov_b32_e32 v195, 0                                      // 000000003378: 7F860280
	v_mov_b32_e32 v196, 0                                      // 00000000337C: 7F880280
	v_mov_b32_e32 v197, 0                                      // 000000003380: 7F8A0280
	v_mov_b32_e32 v198, 0                                      // 000000003384: 7F8C0280
	v_mov_b32_e32 v199, 0                                      // 000000003388: 7F8E0280
	v_mov_b32_e32 v200, 0                                      // 00000000338C: 7F900280
	v_mov_b32_e32 v201, 0                                      // 000000003390: 7F920280
	v_mov_b32_e32 v202, 0                                      // 000000003394: 7F940280
	v_mov_b32_e32 v203, 0                                      // 000000003398: 7F960280
	v_mov_b32_e32 v204, 0                                      // 00000000339C: 7F980280
	v_mov_b32_e32 v205, 0                                      // 0000000033A0: 7F9A0280
	v_mov_b32_e32 v206, 0                                      // 0000000033A4: 7F9C0280
	v_mov_b32_e32 v207, 0                                      // 0000000033A8: 7F9E0280
	v_mov_b32_e32 v208, 0                                      // 0000000033AC: 7FA00280
	v_mov_b32_e32 v209, 0                                      // 0000000033B0: 7FA20280
	v_mov_b32_e32 v210, 0                                      // 0000000033B4: 7FA40280
	v_mov_b32_e32 v211, 0                                      // 0000000033B8: 7FA60280
	v_mov_b32_e32 v212, 0                                      // 0000000033BC: 7FA80280
	v_mov_b32_e32 v213, 0                                      // 0000000033C0: 7FAA0280
	v_mov_b32_e32 v214, 0                                      // 0000000033C4: 7FAC0280
	v_mov_b32_e32 v215, 0                                      // 0000000033C8: 7FAE0280
	v_mov_b32_e32 v216, 0                                      // 0000000033CC: 7FB00280
	v_mov_b32_e32 v217, 0                                      // 0000000033D0: 7FB20280
	v_mov_b32_e32 v218, 0                                      // 0000000033D4: 7FB40280
	v_mov_b32_e32 v219, 0                                      // 0000000033D8: 7FB60280
	v_mov_b32_e32 v220, 0                                      // 0000000033DC: 7FB80280
	v_mov_b32_e32 v221, 0                                      // 0000000033E0: 7FBA0280
	v_mov_b32_e32 v222, 0                                      // 0000000033E4: 7FBC0280
	v_mov_b32_e32 v223, 0                                      // 0000000033E8: 7FBE0280
	v_mov_b32_e32 v224, 0                                      // 0000000033EC: 7FC00280
	v_mov_b32_e32 v225, 0                                      // 0000000033F0: 7FC20280
	v_mov_b32_e32 v226, 0                                      // 0000000033F4: 7FC40280
	v_mov_b32_e32 v227, 0                                      // 0000000033F8: 7FC60280
	v_mov_b32_e32 v228, 0                                      // 0000000033FC: 7FC80280
	v_mov_b32_e32 v229, 0                                      // 000000003400: 7FCA0280
	v_mov_b32_e32 v230, 0                                      // 000000003404: 7FCC0280
	v_mov_b32_e32 v231, 0                                      // 000000003408: 7FCE0280
	v_mov_b32_e32 v232, 0                                      // 00000000340C: 7FD00280
	v_mov_b32_e32 v233, 0                                      // 000000003410: 7FD20280
	v_mov_b32_e32 v234, 0                                      // 000000003414: 7FD40280
	v_mov_b32_e32 v235, 0                                      // 000000003418: 7FD60280
	v_mov_b32_e32 v236, 0                                      // 00000000341C: 7FD80280
	v_mov_b32_e32 v237, 0                                      // 000000003420: 7FDA0280
	v_mov_b32_e32 v238, 0                                      // 000000003424: 7FDC0280
	v_mov_b32_e32 v239, 0                                      // 000000003428: 7FDE0280
	v_mov_b32_e32 v240, 0                                      // 00000000342C: 7FE00280
	v_mov_b32_e32 v241, 0                                      // 000000003430: 7FE20280
	v_mov_b32_e32 v242, 0                                      // 000000003434: 7FE40280
	v_mov_b32_e32 v243, 0                                      // 000000003438: 7FE60280
	v_mov_b32_e32 v244, 0                                      // 00000000343C: 7FE80280
	v_mov_b32_e32 v245, 0                                      // 000000003440: 7FEA0280
	v_mov_b32_e32 v246, 0                                      // 000000003444: 7FEC0280
	v_mov_b32_e32 v247, 0                                      // 000000003448: 7FEE0280
	v_mov_b32_e32 v248, 0                                      // 00000000344C: 7FF00280
	v_mov_b32_e32 v249, 0                                      // 000000003450: 7FF20280
	v_mov_b32_e32 v250, 0                                      // 000000003454: 7FF40280
	v_mov_b32_e32 v251, 0                                      // 000000003458: 7FF60280
	v_mov_b32_e32 v252, 0                                      // 00000000345C: 7FF80280
	v_mov_b32_e32 v253, 0                                      // 000000003460: 7FFA0280
	v_mov_b32_e32 v254, 0                                      // 000000003464: 7FFC0280
	v_mov_b32_e32 v255, 0                                      // 000000003468: 7FFE0280
	v_accvgpr_write_b32 a144, 0                                // 00000000346C: D3D94090 18000080
	v_accvgpr_write_b32 a145, 0                                // 000000003474: D3D94091 18000080
	v_accvgpr_write_b32 a146, 0                                // 00000000347C: D3D94092 18000080
	v_accvgpr_write_b32 a147, 0                                // 000000003484: D3D94093 18000080
	v_accvgpr_write_b32 a148, 0                                // 00000000348C: D3D94094 18000080
	v_accvgpr_write_b32 a149, 0                                // 000000003494: D3D94095 18000080
	v_accvgpr_write_b32 a150, 0                                // 00000000349C: D3D94096 18000080
	v_accvgpr_write_b32 a151, 0                                // 0000000034A4: D3D94097 18000080
	v_accvgpr_write_b32 a152, 0                                // 0000000034AC: D3D94098 18000080
	v_accvgpr_write_b32 a153, 0                                // 0000000034B4: D3D94099 18000080
	v_accvgpr_write_b32 a154, 0                                // 0000000034BC: D3D9409A 18000080
	v_accvgpr_write_b32 a155, 0                                // 0000000034C4: D3D9409B 18000080
	v_accvgpr_write_b32 a156, 0                                // 0000000034CC: D3D9409C 18000080
	v_accvgpr_write_b32 a157, 0                                // 0000000034D4: D3D9409D 18000080
	v_accvgpr_write_b32 a158, 0                                // 0000000034DC: D3D9409E 18000080
	v_accvgpr_write_b32 a159, 0                                // 0000000034E4: D3D9409F 18000080
	v_accvgpr_write_b32 a160, 0                                // 0000000034EC: D3D940A0 18000080
	v_accvgpr_write_b32 a161, 0                                // 0000000034F4: D3D940A1 18000080
	v_accvgpr_write_b32 a162, 0                                // 0000000034FC: D3D940A2 18000080
	v_accvgpr_write_b32 a163, 0                                // 000000003504: D3D940A3 18000080
	v_accvgpr_write_b32 a164, 0                                // 00000000350C: D3D940A4 18000080
	v_accvgpr_write_b32 a165, 0                                // 000000003514: D3D940A5 18000080
	v_accvgpr_write_b32 a166, 0                                // 00000000351C: D3D940A6 18000080
	v_accvgpr_write_b32 a167, 0                                // 000000003524: D3D940A7 18000080
	v_accvgpr_write_b32 a168, 0                                // 00000000352C: D3D940A8 18000080
	v_accvgpr_write_b32 a169, 0                                // 000000003534: D3D940A9 18000080
	v_accvgpr_write_b32 a170, 0                                // 00000000353C: D3D940AA 18000080
	v_accvgpr_write_b32 a171, 0                                // 000000003544: D3D940AB 18000080
	v_accvgpr_write_b32 a172, 0                                // 00000000354C: D3D940AC 18000080
	v_accvgpr_write_b32 a173, 0                                // 000000003554: D3D940AD 18000080
	v_accvgpr_write_b32 a174, 0                                // 00000000355C: D3D940AE 18000080
	v_accvgpr_write_b32 a175, 0                                // 000000003564: D3D940AF 18000080
	v_accvgpr_write_b32 a176, 0                                // 00000000356C: D3D940B0 18000080
	v_accvgpr_write_b32 a177, 0                                // 000000003574: D3D940B1 18000080
	v_accvgpr_write_b32 a178, 0                                // 00000000357C: D3D940B2 18000080
	v_accvgpr_write_b32 a179, 0                                // 000000003584: D3D940B3 18000080
	v_accvgpr_write_b32 a180, 0                                // 00000000358C: D3D940B4 18000080
	v_accvgpr_write_b32 a181, 0                                // 000000003594: D3D940B5 18000080
	v_accvgpr_write_b32 a182, 0                                // 00000000359C: D3D940B6 18000080
	v_accvgpr_write_b32 a183, 0                                // 0000000035A4: D3D940B7 18000080
	v_accvgpr_write_b32 a184, 0                                // 0000000035AC: D3D940B8 18000080
	v_accvgpr_write_b32 a185, 0                                // 0000000035B4: D3D940B9 18000080
	v_accvgpr_write_b32 a186, 0                                // 0000000035BC: D3D940BA 18000080
	v_accvgpr_write_b32 a187, 0                                // 0000000035C4: D3D940BB 18000080
	v_accvgpr_write_b32 a188, 0                                // 0000000035CC: D3D940BC 18000080
	v_accvgpr_write_b32 a189, 0                                // 0000000035D4: D3D940BD 18000080
	v_accvgpr_write_b32 a190, 0                                // 0000000035DC: D3D940BE 18000080
	v_accvgpr_write_b32 a191, 0                                // 0000000035E4: D3D940BF 18000080
	v_accvgpr_write_b32 a192, 0                                // 0000000035EC: D3D940C0 18000080
	v_accvgpr_write_b32 a193, 0                                // 0000000035F4: D3D940C1 18000080
	v_accvgpr_write_b32 a194, 0                                // 0000000035FC: D3D940C2 18000080
	v_accvgpr_write_b32 a195, 0                                // 000000003604: D3D940C3 18000080
	v_accvgpr_write_b32 a196, 0                                // 00000000360C: D3D940C4 18000080
	v_accvgpr_write_b32 a197, 0                                // 000000003614: D3D940C5 18000080
	v_accvgpr_write_b32 a198, 0                                // 00000000361C: D3D940C6 18000080
	v_accvgpr_write_b32 a199, 0                                // 000000003624: D3D940C7 18000080
	v_lshrrev_b32_e32 v20, 4, v0                               // 00000000362C: 20280084
	v_mul_i32_i24_e32 v21, 4, v20                              // 000000003630: 0C2A2884
	v_and_b32_e32 v20, 15, v0                                  // 000000003634: 2628008F
	v_and_b32_e32 v22, 3, v20                                  // 000000003638: 262C2883
	v_mul_i32_i24_e32 v22, 0x488, v22                          // 00000000363C: 0C2C2CFF 00000488
	v_add_u32_e32 v4, v22, v21                                 // 000000003644: 68082B16
	v_lshrrev_b32_e32 v20, 2, v20                              // 000000003648: 20282882
	v_and_b32_e32 v21, 1, v20                                  // 00000000364C: 262A2881
	v_mul_i32_i24_e32 v21, 16, v21                             // 000000003650: 0C2A2A90
	v_add_u32_e32 v4, v4, v21                                  // 000000003654: 68082B04
	v_and_b32_e32 v21, 2, v20                                  // 000000003658: 262A2882
	v_mul_i32_i24_e32 v21, 0x120, v21                          // 00000000365C: 0C2A2AFF 00000120
	v_add_u32_e32 v4, v4, v21                                  // 000000003664: 68082B04
	v_lshlrev_b32_e32 v4, 2, v4                                // 000000003668: 24080882
	v_lshrrev_b32_e32 v20, 5, v0                               // 00000000366C: 20280085
	v_mul_i32_i24_e32 v5, 0x240, v20                           // 000000003670: 0C0A28FF 00000240
	v_and_b32_e32 v20, 31, v0                                  // 000000003678: 2628009F
	v_add_u32_e32 v5, v20, v5                                  // 00000000367C: 680A0B14
	s_mul_i32 s56, 64, s7                                      // 000000003680: 923807C0
	v_add_u32_e64 v5, v5, s56                                  // 000000003684: D1340005 00007105
	v_lshlrev_b32_e32 v5, 2, v5                                // 00000000368C: 240A0A82
	v_lshlrev_b32_e32 v6, 2, v0                                // 000000003690: 240C0082
	s_mul_i32 s56, 0x200, s7                                   // 000000003694: 923807FF 00000200
	v_add_u32_e64 v6, v6, s56                                  // 00000000369C: D1340006 00007106
	v_lshlrev_b32_e32 v6, 2, v6                                // 0000000036A4: 240C0C82
	v_lshlrev_b32_e32 v7, 4, v0                                // 0000000036A8: 240E0084
	v_mul_u32_u24_dpp v18, v11, v9 row_newbcast:0 row_mask:0xf bank_mask:0xf// 0000000036AC: 102412FA FF01500B
	v_mul_u32_u24_dpp v19, v11, v9 row_newbcast:8 row_mask:0xf bank_mask:0xf// 0000000036B4: 102612FA FF01580B
	v_add_u32_e32 v18, v18, v1                                 // 0000000036BC: 68240312
	v_add_u32_e32 v19, v19, v1                                 // 0000000036C0: 68260313
	s_mov_b32 m0, s36                                          // 0000000036C4: BEFC0024
	buffer_load_dword v11, v8, s[24:27], 0 offen               // 0000000036C8: E0501000 80060B08
	v_add_u32_e32 v8, s73, v8                                  // 0000000036D0: 68101049
	buffer_load_dword v18, s[20:23], 0 offen lds               // 0000000036D4: E0511000 80050012
	s_add_u32 m0, 0, s37                                       // 0000000036DC: 807C2580
	buffer_load_dword v19, s[20:23], 0 offen lds               // 0000000036E0: E0511000 80050013
	s_add_u32 m0, 0xc0, s36                                    // 0000000036E8: 807C24FF 000000C0
	buffer_load_dword v18, s[20:23], 0 offen offset:64 lds     // 0000000036F0: E0511040 80050012
	s_add_u32 m0, 0xc0, s37                                    // 0000000036F8: 807C25FF 000000C0
	buffer_load_dword v19, s[20:23], 0 offen offset:64 lds     // 000000003700: E0511040 80050013
	s_add_u32 m0, 0x180, s36                                   // 000000003708: 807C24FF 00000180
	buffer_load_dword v18, s[20:23], 0 offen offset:128 lds    // 000000003710: E0511080 80050012
	s_add_u32 m0, 0x180, s37                                   // 000000003718: 807C25FF 00000180
	buffer_load_dword v19, s[20:23], 0 offen offset:128 lds    // 000000003720: E0511080 80050013
	s_add_u32 m0, 0x240, s36                                   // 000000003728: 807C24FF 00000240
	buffer_load_dword v18, s[20:23], 0 offen offset:192 lds    // 000000003730: E05110C0 80050012
	s_add_u32 m0, 0x240, s37                                   // 000000003738: 807C25FF 00000240
	buffer_load_dword v19, s[20:23], 0 offen offset:192 lds    // 000000003740: E05110C0 80050013
	s_add_u32 m0, 0x300, s36                                   // 000000003748: 807C24FF 00000300
	buffer_load_dword v18, s[20:23], 0 offen offset:256 lds    // 000000003750: E0511100 80050012
	s_add_u32 m0, 0x300, s37                                   // 000000003758: 807C25FF 00000300
	buffer_load_dword v19, s[20:23], 0 offen offset:256 lds    // 000000003760: E0511100 80050013
	s_add_u32 m0, 0x3c0, s36                                   // 000000003768: 807C24FF 000003C0
	buffer_load_dword v18, s[20:23], 0 offen offset:320 lds    // 000000003770: E0511140 80050012
	s_add_u32 m0, 0x3c0, s37                                   // 000000003778: 807C25FF 000003C0
	buffer_load_dword v19, s[20:23], 0 offen offset:320 lds    // 000000003780: E0511140 80050013
	s_add_u32 m0, 0x480, s36                                   // 000000003788: 807C24FF 00000480
	buffer_load_dword v18, s[20:23], 0 offen offset:384 lds    // 000000003790: E0511180 80050012
	s_add_u32 m0, 0x480, s37                                   // 000000003798: 807C25FF 00000480
	buffer_load_dword v19, s[20:23], 0 offen offset:384 lds    // 0000000037A0: E0511180 80050013
	s_add_u32 m0, 0x540, s36                                   // 0000000037A8: 807C24FF 00000540
	buffer_load_dword v18, s[20:23], 0 offen offset:448 lds    // 0000000037B0: E05111C0 80050012
	s_add_u32 m0, 0x540, s37                                   // 0000000037B8: 807C25FF 00000540
	buffer_load_dword v19, s[20:23], 0 offen offset:448 lds    // 0000000037C0: E05111C0 80050013
	s_add_u32 m0, 0x600, s36                                   // 0000000037C8: 807C24FF 00000600
	buffer_load_dword v18, s[20:23], 0 offen offset:512 lds    // 0000000037D0: E0511200 80050012
	s_add_u32 m0, 0x600, s37                                   // 0000000037D8: 807C25FF 00000600
	buffer_load_dword v19, s[20:23], 0 offen offset:512 lds    // 0000000037E0: E0511200 80050013
	s_add_u32 m0, 0x6c0, s36                                   // 0000000037E8: 807C24FF 000006C0
	s_waitcnt vmcnt(19) lgkmcnt(0)                             // 0000000037F0: BF8C4073
	s_barrier                                                  // 0000000037F4: BF8A0000
	v_mul_u32_u24_dpp v18, v10, v9 row_newbcast:0 row_mask:0xf bank_mask:0xf// 0000000037F8: 102412FA FF01500A
	v_mul_u32_u24_dpp v19, v10, v9 row_newbcast:8 row_mask:0xf bank_mask:0xf// 000000003800: 102612FA FF01580A
	v_add_u32_e32 v18, v18, v1                                 // 000000003808: 68240312
	v_add_u32_e32 v19, v19, v1                                 // 00000000380C: 68260313
	s_mov_b32 m0, s34                                          // 000000003810: BEFC0022
	ds_read_b32 v20, v5                                        // 000000003814: D86C0000 14000005
	ds_read_b32 v21, v5 offset:4640                            // 00000000381C: D86C1220 15000005
	ds_read_b32 v22, v5 offset:9280                            // 000000003824: D86C2440 16000005
	ds_read_b32 v23, v5 offset:13920                           // 00000000382C: D86C3660 17000005
	ds_read_b32 v24, v5 offset:128                             // 000000003834: D86C0080 18000005
	ds_read_b32 v25, v5 offset:4768                            // 00000000383C: D86C12A0 19000005
	ds_read_b32 v26, v5 offset:9408                            // 000000003844: D86C24C0 1A000005
	ds_read_b32 v27, v5 offset:14048                           // 00000000384C: D86C36E0 1B000005
	s_waitcnt lgkmcnt(0)                                       // 000000003854: BF8CC07F
	v_perm_b32 v32, v22, v20, s52                              // 000000003858: D1ED0020 00D22916
	v_perm_b32 v33, v22, v20, s53                              // 000000003860: D1ED0021 00D62916
	v_perm_b32 v34, v23, v21, s52                              // 000000003868: D1ED0022 00D22B17
	v_perm_b32 v35, v23, v21, s53                              // 000000003870: D1ED0023 00D62B17
	v_perm_b32 v28, v34, v32, s54                              // 000000003878: D1ED001C 00DA4122
	v_perm_b32 v36, v34, v32, s55                              // 000000003880: D1ED0024 00DE4122
	v_perm_b32 v30, v35, v33, s54                              // 000000003888: D1ED001E 00DA4323
	v_perm_b32 v38, v35, v33, s55                              // 000000003890: D1ED0026 00DE4323
	v_perm_b32 v32, v26, v24, s52                              // 000000003898: D1ED0020 00D2311A
	v_perm_b32 v33, v26, v24, s53                              // 0000000038A0: D1ED0021 00D6311A
	v_perm_b32 v34, v27, v25, s52                              // 0000000038A8: D1ED0022 00D2331B
	v_perm_b32 v35, v27, v25, s53                              // 0000000038B0: D1ED0023 00D6331B
	v_perm_b32 v29, v34, v32, s54                              // 0000000038B8: D1ED001D 00DA4122
	v_perm_b32 v37, v34, v32, s55                              // 0000000038C0: D1ED0025 00DE4122
	v_perm_b32 v31, v35, v33, s54                              // 0000000038C8: D1ED001F 00DA4323
	v_perm_b32 v39, v35, v33, s55                              // 0000000038D0: D1ED0027 00DE4323
	ds_write_b128 v6, v[28:31] offset:37120                    // 0000000038D8: D9BE9100 00001C06
	ds_write_b128 v6, v[36:39] offset:38144                    // 0000000038E0: D9BE9500 00002406
	ds_read_b32 v20, v5 offset:1024                            // 0000000038E8: D86C0400 14000005
	ds_read_b32 v21, v5 offset:5664                            // 0000000038F0: D86C1620 15000005
	ds_read_b32 v22, v5 offset:10304                           // 0000000038F8: D86C2840 16000005
	ds_read_b32 v23, v5 offset:14944                           // 000000003900: D86C3A60 17000005
	ds_read_b32 v24, v5 offset:1152                            // 000000003908: D86C0480 18000005
	ds_read_b32 v25, v5 offset:5792                            // 000000003910: D86C16A0 19000005
	ds_read_b32 v26, v5 offset:10432                           // 000000003918: D86C28C0 1A000005
	ds_read_b32 v27, v5 offset:15072                           // 000000003920: D86C3AE0 1B000005
	ds_read_b128 a[72:75], v4                                  // 000000003928: DBFE0000 48000004
	ds_read_b128 a[76:79], v4 offset:256                       // 000000003930: DBFE0100 4C000004
	ds_read_b128 a[80:83], v4 offset:512                       // 000000003938: DBFE0200 50000004
	ds_read_b128 a[84:87], v4 offset:768                       // 000000003940: DBFE0300 54000004
	ds_read_b128 a[88:91], v4 offset:1024                      // 000000003948: DBFE0400 58000004
	ds_read_b128 a[92:95], v4 offset:1280                      // 000000003950: DBFE0500 5C000004
	ds_read_b128 a[96:99], v4 offset:1536                      // 000000003958: DBFE0600 60000004
	ds_read_b128 a[100:103], v4 offset:1792                    // 000000003960: DBFE0700 64000004
	ds_read_b128 a[104:107], v4 offset:2048                    // 000000003968: DBFE0800 68000004
	s_nop 0                                                    // 000000003970: BF800000
	s_cmp_lt_u32 s71, 1                                        // 000000003974: BF0A8147
	s_cbranch_scc1 label_1A10                                  // 000000003978: BF851471
	s_cmp_lt_i32 s7, 2                                         // 00000000397C: BF048207
	s_cbranch_scc0 label_0FD9                                  // 000000003980: BF840A38

0000000000003984 <label_05A1>:
	s_waitcnt lgkmcnt(4)                                       // 000000003984: BF8CC47F
	v_mfma_f32_16x16x32_fp8_fp8 v[40:43], a[72:73], a[0:1], 0  // 000000003988: D3F30028 1A020148
	ds_read_b128 a[104:107], v4 offset:2048                    // 000000003990: DBFE0800 68000004
	ds_read_b128 a[108:111], v4 offset:128                     // 000000003998: DBFE0080 6C000004
	v_mfma_f32_16x16x32_fp8_fp8 v[40:43], a[74:75], a[2:3], v[40:43]// 0000000039A0: D3F30028 1CA2054A
	buffer_load_dword v10, v8, s[24:27], 0 offen               // 0000000039A8: E0501000 80060A08
	v_mfma_f32_16x16x32_fp8_fp8 v[40:43], a[76:77], a[4:5], v[40:43]// 0000000039B0: D3F30028 1CA2094C
	v_mfma_f32_16x16x32_fp8_fp8 v[40:43], a[78:79], a[6:7], v[40:43]// 0000000039B8: D3F30028 1CA20D4E
	v_mfma_f32_16x16x32_fp8_fp8 v[40:43], a[80:81], a[8:9], v[40:43]// 0000000039C0: D3F30028 1CA21150
	ds_read_b128 a[112:115], v4 offset:384                     // 0000000039C8: DBFE0180 70000004
	ds_read_b128 a[116:119], v4 offset:640                     // 0000000039D0: DBFE0280 74000004
	v_mfma_f32_16x16x32_fp8_fp8 v[40:43], a[82:83], a[10:11], v[40:43]// 0000000039D8: D3F30028 1CA21552
	v_mfma_f32_16x16x32_fp8_fp8 v[40:43], a[84:85], a[12:13], v[40:43]// 0000000039E0: D3F30028 1CA21954
	v_mfma_f32_16x16x32_fp8_fp8 v[40:43], a[86:87], a[14:15], v[40:43]// 0000000039E8: D3F30028 1CA21D56
	s_waitcnt lgkmcnt(4)                                       // 0000000039F0: BF8CC47F
	v_mfma_f32_16x16x32_fp8_fp8 v[40:43], a[88:89], a[16:17], v[40:43]// 0000000039F4: D3F30028 1CA22158
	ds_read_b128 a[120:123], v4 offset:896                     // 0000000039FC: DBFE0380 78000004
	ds_read_b128 a[124:127], v4 offset:1152                    // 000000003A04: DBFE0480 7C000004
	v_mfma_f32_16x16x32_fp8_fp8 v[40:43], a[90:91], a[18:19], v[40:43]// 000000003A0C: D3F30028 1CA2255A
	v_mfma_f32_16x16x32_fp8_fp8 v[40:43], a[92:93], a[20:21], v[40:43]// 000000003A14: D3F30028 1CA2295C
	v_mfma_f32_16x16x32_fp8_fp8 v[40:43], a[94:95], a[22:23], v[40:43]// 000000003A1C: D3F30028 1CA22D5E
	v_mfma_f32_16x16x32_fp8_fp8 v[40:43], a[96:97], a[24:25], v[40:43]// 000000003A24: D3F30028 1CA23160
	ds_read_b128 a[128:131], v4 offset:1408                    // 000000003A2C: DBFE0580 80000004
	ds_read_b128 a[132:135], v4 offset:1664                    // 000000003A34: DBFE0680 84000004
	v_mfma_f32_16x16x32_fp8_fp8 v[40:43], a[98:99], a[26:27], v[40:43]// 000000003A3C: D3F30028 1CA23562
	v_mfma_f32_16x16x32_fp8_fp8 v[40:43], a[100:101], a[28:29], v[40:43]// 000000003A44: D3F30028 1CA23964
	v_mfma_f32_16x16x32_fp8_fp8 v[40:43], a[102:103], a[30:31], v[40:43]// 000000003A4C: D3F30028 1CA23D66
	s_waitcnt lgkmcnt(4)                                       // 000000003A54: BF8CC47F
	s_barrier                                                  // 000000003A58: BF8A0000
	v_mfma_f32_16x16x32_fp8_fp8 v[40:43], a[104:105], a[32:33], v[40:43]// 000000003A5C: D3F30028 1CA24168
	ds_read_b128 a[136:139], v4 offset:1920                    // 000000003A64: DBFE0780 88000004
	ds_read_b128 a[140:143], v4 offset:2176                    // 000000003A6C: DBFE0880 8C000004
	v_mfma_f32_16x16x32_fp8_fp8 v[40:43], a[106:107], a[34:35], v[40:43]// 000000003A74: D3F30028 1CA2456A
	v_mfma_f32_16x16x32_fp8_fp8 v[44:47], a[108:109], a[0:1], 0// 000000003A7C: D3F3002C 1A02016C
	v_perm_b32 v32, v22, v20, s52                              // 000000003A84: D1ED0020 00D22916
	v_perm_b32 v33, v22, v20, s53                              // 000000003A8C: D1ED0021 00D62916
	v_perm_b32 v34, v23, v21, s52                              // 000000003A94: D1ED0022 00D22B17
	v_perm_b32 v35, v23, v21, s53                              // 000000003A9C: D1ED0023 00D62B17
	v_perm_b32 v28, v34, v32, s54                              // 000000003AA4: D1ED001C 00DA4122
	v_perm_b32 v36, v34, v32, s55                              // 000000003AAC: D1ED0024 00DE4122
	v_perm_b32 v30, v35, v33, s54                              // 000000003AB4: D1ED001E 00DA4323
	v_perm_b32 v38, v35, v33, s55                              // 000000003ABC: D1ED0026 00DE4323
	v_mfma_f32_16x16x32_fp8_fp8 v[44:47], a[110:111], a[2:3], v[44:47]// 000000003AC4: D3F3002C 1CB2056E
	buffer_load_dword v18, s[20:23], 0 offen lds               // 000000003ACC: E0511000 80050012
	s_add_u32 m0, 0, s35                                       // 000000003AD4: 807C2380
	v_mfma_f32_16x16x32_fp8_fp8 v[44:47], a[112:113], a[4:5], v[44:47]// 000000003AD8: D3F3002C 1CB20970
	v_perm_b32 v32, v26, v24, s52                              // 000000003AE0: D1ED0020 00D2311A
	v_perm_b32 v33, v26, v24, s53                              // 000000003AE8: D1ED0021 00D6311A
	v_perm_b32 v34, v27, v25, s52                              // 000000003AF0: D1ED0022 00D2331B
	v_perm_b32 v35, v27, v25, s53                              // 000000003AF8: D1ED0023 00D6331B
	v_perm_b32 v29, v34, v32, s54                              // 000000003B00: D1ED001D 00DA4122
	v_perm_b32 v37, v34, v32, s55                              // 000000003B08: D1ED0025 00DE4122
	v_perm_b32 v31, v35, v33, s54                              // 000000003B10: D1ED001F 00DA4323
	v_perm_b32 v39, v35, v33, s55                              // 000000003B18: D1ED0027 00DE4323
	v_mfma_f32_16x16x32_fp8_fp8 v[44:47], a[114:115], a[6:7], v[44:47]// 000000003B20: D3F3002C 1CB20D72
	buffer_load_dword v19, s[20:23], 0 offen lds               // 000000003B28: E0511000 80050013
	s_add_u32 m0, 0xc0, s34                                    // 000000003B30: 807C22FF 000000C0
	v_mfma_f32_16x16x32_fp8_fp8 v[44:47], a[116:117], a[8:9], v[44:47]// 000000003B38: D3F3002C 1CB21174
	ds_write_b128 v6, v[28:31] offset:45312                    // 000000003B40: D9BEB100 00001C06
	v_mfma_f32_16x16x32_fp8_fp8 v[44:47], a[118:119], a[10:11], v[44:47]// 000000003B48: D3F3002C 1CB21576
	buffer_load_dword v18, s[20:23], 0 offen offset:64 lds     // 000000003B50: E0511040 80050012
	s_add_u32 m0, 0xc0, s35                                    // 000000003B58: 807C23FF 000000C0
	s_waitcnt lgkmcnt(1)                                       // 000000003B60: BF8CC17F
	v_mfma_f32_16x16x32_fp8_fp8 v[44:47], a[120:121], a[12:13], v[44:47]// 000000003B64: D3F3002C 1CB21978
	ds_write_b128 v6, v[36:39] offset:46336                    // 000000003B6C: D9BEB500 00002406
	v_mfma_f32_16x16x32_fp8_fp8 v[44:47], a[122:123], a[14:15], v[44:47]// 000000003B74: D3F3002C 1CB21D7A
	buffer_load_dword v19, s[20:23], 0 offen offset:64 lds     // 000000003B7C: E0511040 80050013
	s_add_u32 m0, 0x180, s34                                   // 000000003B84: 807C22FF 00000180
	v_mfma_f32_16x16x32_fp8_fp8 v[44:47], a[124:125], a[16:17], v[44:47]// 000000003B8C: D3F3002C 1CB2217C
	v_mfma_f32_16x16x32_fp8_fp8 v[44:47], a[126:127], a[18:19], v[44:47]// 000000003B94: D3F3002C 1CB2257E
	buffer_load_dword v18, s[20:23], 0 offen offset:128 lds    // 000000003B9C: E0511080 80050012
	s_add_u32 m0, 0x180, s35                                   // 000000003BA4: 807C23FF 00000180
	v_mfma_f32_16x16x32_fp8_fp8 v[44:47], a[128:129], a[20:21], v[44:47]// 000000003BAC: D3F3002C 1CB22980
	v_mfma_f32_16x16x32_fp8_fp8 v[44:47], a[130:131], a[22:23], v[44:47]// 000000003BB4: D3F3002C 1CB22D82
	buffer_load_dword v19, s[20:23], 0 offen offset:128 lds    // 000000003BBC: E0511080 80050013
	s_add_u32 m0, 0x240, s34                                   // 000000003BC4: 807C22FF 00000240
	v_mfma_f32_16x16x32_fp8_fp8 v[44:47], a[132:133], a[24:25], v[44:47]// 000000003BCC: D3F3002C 1CB23184
	v_mfma_f32_16x16x32_fp8_fp8 v[44:47], a[134:135], a[26:27], v[44:47]// 000000003BD4: D3F3002C 1CB23586
	buffer_load_dword v18, s[20:23], 0 offen offset:192 lds    // 000000003BDC: E05110C0 80050012
	s_add_u32 m0, 0x240, s35                                   // 000000003BE4: 807C23FF 00000240
	v_mfma_f32_16x16x32_fp8_fp8 v[44:47], a[136:137], a[28:29], v[44:47]// 000000003BEC: D3F3002C 1CB23988
	v_mfma_f32_16x16x32_fp8_fp8 v[44:47], a[138:139], a[30:31], v[44:47]// 000000003BF4: D3F3002C 1CB23D8A
	buffer_load_dword v19, s[20:23], 0 offen offset:192 lds    // 000000003BFC: E05110C0 80050013
	s_add_u32 m0, 0x300, s34                                   // 000000003C04: 807C22FF 00000300
	v_mfma_f32_16x16x32_fp8_fp8 v[44:47], a[140:141], a[32:33], v[44:47]// 000000003C0C: D3F3002C 1CB2418C
	v_mfma_f32_16x16x32_fp8_fp8 v[44:47], a[142:143], a[34:35], v[44:47]// 000000003C14: D3F3002C 1CB2458E
	buffer_load_dword v18, s[20:23], 0 offen offset:256 lds    // 000000003C1C: E0511100 80050012
	s_add_u32 m0, 0x300, s35                                   // 000000003C24: 807C23FF 00000300
	v_add_u32_e32 v8, s73, v8                                  // 000000003C2C: 68101049
	s_cmp_le_i32 s83, s82                                      // 000000003C30: BF055253
	s_cbranch_scc1 label_0688                                  // 000000003C34: BF85003A
	v_mov_b32_e32 v25, 0xff800000                              // 000000003C38: 7E3202FF FF800000
	v_mov_b32_e32 v24, s82                                     // 000000003C40: 7E300252
	s_sub_u32 s56, s83, 31                                     // 000000003C44: 80B89F53
	v_lshrrev_b32_e32 v20, 4, v0                               // 000000003C48: 20280084
	v_mul_i32_i24_e32 v20, 4, v20                              // 000000003C4C: 0C282884
	v_add_u32_e32 v20, s56, v20                                // 000000003C50: 68282838
	v_add_u32_e32 v21, 1, v20                                  // 000000003C54: 682A2881
	v_add_u32_e32 v22, 2, v20                                  // 000000003C58: 682C2882
	v_add_u32_e32 v23, 3, v20                                  // 000000003C5C: 682E2883
	v_cmp_le_u32_e64 s[38:39], v20, v24                        // 000000003C60: D0CB0026 00023114
	v_add_u32_e32 v20, 16, v20                                 // 000000003C68: 68282890
	s_nop 0                                                    // 000000003C6C: BF800000
	v_cndmask_b32_e64 v40, v25, v40, s[38:39]                  // 000000003C70: D1000028 009A5119
	v_cmp_le_u32_e64 s[38:39], v21, v24                        // 000000003C78: D0CB0026 00023115
	v_add_u32_e32 v21, 16, v21                                 // 000000003C80: 682A2A90
	s_nop 0                                                    // 000000003C84: BF800000
	v_cndmask_b32_e64 v41, v25, v41, s[38:39]                  // 000000003C88: D1000029 009A5319
	v_cmp_le_u32_e64 s[38:39], v22, v24                        // 000000003C90: D0CB0026 00023116
	v_add_u32_e32 v22, 16, v22                                 // 000000003C98: 682C2C90
	s_nop 0                                                    // 000000003C9C: BF800000
	v_cndmask_b32_e64 v42, v25, v42, s[38:39]                  // 000000003CA0: D100002A 009A5519
	v_cmp_le_u32_e64 s[38:39], v23, v24                        // 000000003CA8: D0CB0026 00023117
	v_add_u32_e32 v23, 16, v23                                 // 000000003CB0: 682E2E90
	s_nop 0                                                    // 000000003CB4: BF800000
	v_cndmask_b32_e64 v43, v25, v43, s[38:39]                  // 000000003CB8: D100002B 009A5719
	v_cmp_le_u32_e64 s[38:39], v20, v24                        // 000000003CC0: D0CB0026 00023114
	v_add_u32_e32 v20, 16, v20                                 // 000000003CC8: 68282890
	s_nop 0                                                    // 000000003CCC: BF800000
	v_cndmask_b32_e64 v44, v25, v44, s[38:39]                  // 000000003CD0: D100002C 009A5919
	v_cmp_le_u32_e64 s[38:39], v21, v24                        // 000000003CD8: D0CB0026 00023115
	v_add_u32_e32 v21, 16, v21                                 // 000000003CE0: 682A2A90
	s_nop 0                                                    // 000000003CE4: BF800000
	v_cndmask_b32_e64 v45, v25, v45, s[38:39]                  // 000000003CE8: D100002D 009A5B19
	v_cmp_le_u32_e64 s[38:39], v22, v24                        // 000000003CF0: D0CB0026 00023116
	v_add_u32_e32 v22, 16, v22                                 // 000000003CF8: 682C2C90
	s_nop 0                                                    // 000000003CFC: BF800000
	v_cndmask_b32_e64 v46, v25, v46, s[38:39]                  // 000000003D00: D100002E 009A5D19
	v_cmp_le_u32_e64 s[38:39], v23, v24                        // 000000003D08: D0CB0026 00023117
	v_add_u32_e32 v23, 16, v23                                 // 000000003D10: 682E2E90
	s_nop 0                                                    // 000000003D14: BF800000
	v_cndmask_b32_e64 v47, v25, v47, s[38:39]                  // 000000003D18: D100002F 009A5F19

0000000000003d20 <label_0688>:
	s_waitcnt lgkmcnt(0)                                       // 000000003D20: BF8CC07F
	s_barrier                                                  // 000000003D24: BF8A0000
	v_mfma_f32_16x16x32_fp8_fp8 v[48:51], a[72:73], a[36:37], 0// 000000003D28: D3F30030 1A024948
	v_mfma_f32_16x16x32_fp8_fp8 v[48:51], a[74:75], a[38:39], v[48:51]// 000000003D30: D3F30030 1CC24D4A
	v_max3_f32 v24, v40, v41, v40                              // 000000003D38: D1D30018 04A25328
	v_max3_f32 v24, v42, v43, v24                              // 000000003D40: D1D30018 0462572A
	v_max3_f32 v24, v44, v45, v24                              // 000000003D48: D1D30018 04625B2C
	v_max3_f32 v24, v46, v47, v24                              // 000000003D50: D1D30018 04625F2E
	ds_write_b32 v3, v24 offset:53504                          // 000000003D58: D81AD100 00001803
	v_mfma_f32_16x16x32_fp8_fp8 v[48:51], a[76:77], a[40:41], v[48:51]// 000000003D60: D3F30030 1CC2514C
	v_mfma_f32_16x16x32_fp8_fp8 v[48:51], a[78:79], a[42:43], v[48:51]// 000000003D68: D3F30030 1CC2554E
	buffer_load_dword v19, s[20:23], 0 offen offset:256 lds    // 000000003D70: E0511100 80050013
	s_add_u32 m0, 0x3c0, s34                                   // 000000003D78: 807C22FF 000003C0
	v_mfma_f32_16x16x32_fp8_fp8 v[48:51], a[80:81], a[44:45], v[48:51]// 000000003D80: D3F30030 1CC25950
	v_mfma_f32_16x16x32_fp8_fp8 v[48:51], a[82:83], a[46:47], v[48:51]// 000000003D88: D3F30030 1CC25D52
	buffer_load_dword v18, s[20:23], 0 offen offset:320 lds    // 000000003D90: E0511140 80050012
	s_add_u32 m0, 0x3c0, s35                                   // 000000003D98: 807C23FF 000003C0
	v_mfma_f32_16x16x32_fp8_fp8 v[48:51], a[84:85], a[48:49], v[48:51]// 000000003DA0: D3F30030 1CC26154
	s_waitcnt lgkmcnt(0)                                       // 000000003DA8: BF8CC07F
	ds_read_b32 v20, v2 offset:53504                           // 000000003DAC: D86CD100 14000002
	ds_read_b32 v21, v2 offset:53568                           // 000000003DB4: D86CD140 15000002
	v_mfma_f32_16x16x32_fp8_fp8 v[48:51], a[86:87], a[50:51], v[48:51]// 000000003DBC: D3F30030 1CC26556
	ds_read_b32 v22, v2 offset:53632                           // 000000003DC4: D86CD180 16000002
	ds_read_b32 v23, v2 offset:53696                           // 000000003DCC: D86CD1C0 17000002
	v_mfma_f32_16x16x32_fp8_fp8 v[48:51], a[88:89], a[52:53], v[48:51]// 000000003DD4: D3F30030 1CC26958
	v_mfma_f32_16x16x32_fp8_fp8 v[48:51], a[90:91], a[54:55], v[48:51]// 000000003DDC: D3F30030 1CC26D5A
	buffer_load_dword v19, s[20:23], 0 offen offset:320 lds    // 000000003DE4: E0511140 80050013
	s_add_u32 m0, 0x480, s34                                   // 000000003DEC: 807C22FF 00000480
	v_mfma_f32_16x16x32_fp8_fp8 v[48:51], a[92:93], a[56:57], v[48:51]// 000000003DF4: D3F30030 1CC2715C
	v_mfma_f32_16x16x32_fp8_fp8 v[48:51], a[94:95], a[58:59], v[48:51]// 000000003DFC: D3F30030 1CC2755E
	buffer_load_dword v18, s[20:23], 0 offen offset:384 lds    // 000000003E04: E0511180 80050012
	s_add_u32 m0, 0x480, s35                                   // 000000003E0C: 807C23FF 00000480
	v_mfma_f32_16x16x32_fp8_fp8 v[48:51], a[96:97], a[60:61], v[48:51]// 000000003E14: D3F30030 1CC27960
	v_mfma_f32_16x16x32_fp8_fp8 v[48:51], a[98:99], a[62:63], v[48:51]// 000000003E1C: D3F30030 1CC27D62
	buffer_load_dword v19, s[20:23], 0 offen offset:384 lds    // 000000003E24: E0511180 80050013
	s_add_u32 m0, 0x540, s34                                   // 000000003E2C: 807C22FF 00000540
	v_mfma_f32_16x16x32_fp8_fp8 v[48:51], a[100:101], a[64:65], v[48:51]// 000000003E34: D3F30030 1CC28164
	s_waitcnt lgkmcnt(0)                                       // 000000003E3C: BF8CC07F
	v_max3_f32 v24, v20, v21, v24                              // 000000003E40: D1D30018 04622B14
	v_max3_f32 v24, v22, v23, v24                              // 000000003E48: D1D30018 04622F16
	v_mfma_f32_16x16x32_fp8_fp8 v[48:51], a[102:103], a[66:67], v[48:51]// 000000003E50: D3F30030 1CC28566
	v_mfma_f32_16x16x32_fp8_fp8 v[48:51], a[104:105], a[68:69], v[48:51]// 000000003E58: D3F30030 1CC28968
	v_mfma_f32_16x16x32_fp8_fp8 v[48:51], a[106:107], a[70:71], v[48:51]// 000000003E60: D3F30030 1CC28D6A
	buffer_load_dword v18, s[20:23], 0 offen offset:448 lds    // 000000003E68: E05111C0 80050012
	s_add_u32 m0, 0x540, s35                                   // 000000003E70: 807C23FF 00000540
	v_mfma_f32_16x16x32_fp8_fp8 v[52:55], a[108:109], a[36:37], 0// 000000003E78: D3F30034 1A02496C
	v_mfma_f32_16x16x32_fp8_fp8 v[52:55], a[110:111], a[38:39], v[52:55]// 000000003E80: D3F30034 1CD24D6E
	buffer_load_dword v19, s[20:23], 0 offen offset:448 lds    // 000000003E88: E05111C0 80050013
	s_add_u32 m0, 0x600, s34                                   // 000000003E90: 807C22FF 00000600
	v_mfma_f32_16x16x32_fp8_fp8 v[52:55], a[112:113], a[40:41], v[52:55]// 000000003E98: D3F30034 1CD25170
	ds_read_b128 a[72:75], v7 offset:37120                     // 000000003EA0: DBFE9100 48000007
	ds_read_b128 a[76:79], v7 offset:38144                     // 000000003EA8: DBFE9500 4C000007
	v_mfma_f32_16x16x32_fp8_fp8 v[52:55], a[114:115], a[42:43], v[52:55]// 000000003EB0: D3F30034 1CD25572
	buffer_load_dword v18, s[20:23], 0 offen offset:512 lds    // 000000003EB8: E0511200 80050012
	s_add_u32 m0, 0x600, s35                                   // 000000003EC0: 807C23FF 00000600
	v_mfma_f32_16x16x32_fp8_fp8 v[52:55], a[116:117], a[44:45], v[52:55]// 000000003EC8: D3F30034 1CD25974
	v_mfma_f32_16x16x32_fp8_fp8 v[52:55], a[118:119], a[46:47], v[52:55]// 000000003ED0: D3F30034 1CD25D76
	v_mfma_f32_16x16x32_fp8_fp8 v[52:55], a[120:121], a[48:49], v[52:55]// 000000003ED8: D3F30034 1CD26178
	ds_read_b128 a[80:83], v7 offset:39168                     // 000000003EE0: DBFE9900 50000007
	ds_read_b128 a[84:87], v7 offset:40192                     // 000000003EE8: DBFE9D00 54000007
	v_mfma_f32_16x16x32_fp8_fp8 v[52:55], a[122:123], a[50:51], v[52:55]// 000000003EF0: D3F30034 1CD2657A
	buffer_load_dword v19, s[20:23], 0 offen offset:512 lds    // 000000003EF8: E0511200 80050013
	s_add_u32 m0, 0x6c0, s34                                   // 000000003F00: 807C22FF 000006C0
	v_mfma_f32_16x16x32_fp8_fp8 v[52:55], a[124:125], a[52:53], v[52:55]// 000000003F08: D3F30034 1CD2697C
	v_mfma_f32_16x16x32_fp8_fp8 v[52:55], a[126:127], a[54:55], v[52:55]// 000000003F10: D3F30034 1CD26D7E
	v_mfma_f32_16x16x32_fp8_fp8 v[52:55], a[128:129], a[56:57], v[52:55]// 000000003F18: D3F30034 1CD27180
	ds_read_b128 a[88:91], v7 offset:41216                     // 000000003F20: DBFEA100 58000007
	ds_read_b128 a[92:95], v7 offset:42240                     // 000000003F28: DBFEA500 5C000007
	v_mfma_f32_16x16x32_fp8_fp8 v[52:55], a[130:131], a[58:59], v[52:55]// 000000003F30: D3F30034 1CD27582
	v_mfma_f32_16x16x32_fp8_fp8 v[52:55], a[132:133], a[60:61], v[52:55]// 000000003F38: D3F30034 1CD27984
	v_mfma_f32_16x16x32_fp8_fp8 v[52:55], a[134:135], a[62:63], v[52:55]// 000000003F40: D3F30034 1CD27D86
	v_mfma_f32_16x16x32_fp8_fp8 v[52:55], a[136:137], a[64:65], v[52:55]// 000000003F48: D3F30034 1CD28188
	ds_read_b128 a[96:99], v7 offset:43264                     // 000000003F50: DBFEA900 60000007
	ds_read_b128 a[100:103], v7 offset:44288                   // 000000003F58: DBFEAD00 64000007
	v_mfma_f32_16x16x32_fp8_fp8 v[52:55], a[138:139], a[66:67], v[52:55]// 000000003F60: D3F30034 1CD2858A
	v_mfma_f32_16x16x32_fp8_fp8 v[52:55], a[140:141], a[68:69], v[52:55]// 000000003F68: D3F30034 1CD2898C
	v_mfma_f32_16x16x32_fp8_fp8 v[52:55], a[142:143], a[70:71], v[52:55]// 000000003F70: D3F30034 1CD28D8E
	v_mov_b32_e32 v25, 0xff7fffff                              // 000000003F78: 7E3202FF FF7FFFFF
	v_cmp_eq_u32_e64 s[38:39], v25, v12                        // 000000003F80: D0CA0026 00021919
	v_max_f32_e32 v20, v24, v12                                // 000000003F88: 16281918
	v_sub_f32_e32 v16, v12, v20                                // 000000003F8C: 0420290C
	v_cndmask_b32_e64 v16, v16, 0, s[38:39]                    // 000000003F90: D1000010 00990110
	v_mov_b32_e32 v12, v20                                     // 000000003F98: 7E180314
	v_mul_f32_e32 v21, s5, v20                                 // 000000003F9C: 0A2A2805
	v_mul_f32_e32 v16, s5, v16                                 // 000000003FA0: 0A202005
	v_exp_f32_e32 v16, v16                                     // 000000003FA4: 7E204110
	v_fma_f32 v40, v40, s5, -v21                               // 000000003FA8: D1CB0028 84540B28
	v_fma_f32 v41, v41, s5, -v21                               // 000000003FB0: D1CB0029 84540B29
	v_fma_f32 v42, v42, s5, -v21                               // 000000003FB8: D1CB002A 84540B2A
	v_fma_f32 v43, v43, s5, -v21                               // 000000003FC0: D1CB002B 84540B2B
	v_fma_f32 v44, v44, s5, -v21                               // 000000003FC8: D1CB002C 84540B2C
	v_fma_f32 v45, v45, s5, -v21                               // 000000003FD0: D1CB002D 84540B2D
	v_fma_f32 v46, v46, s5, -v21                               // 000000003FD8: D1CB002E 84540B2E
	v_fma_f32 v47, v47, s5, -v21                               // 000000003FE0: D1CB002F 84540B2F
	v_exp_f32_e32 v40, v40                                     // 000000003FE8: 7E504128
	v_exp_f32_e32 v41, v41                                     // 000000003FEC: 7E524129
	v_exp_f32_e32 v42, v42                                     // 000000003FF0: 7E54412A
	v_exp_f32_e32 v43, v43                                     // 000000003FF4: 7E56412B
	v_exp_f32_e32 v44, v44                                     // 000000003FF8: 7E58412C
	v_exp_f32_e32 v45, v45                                     // 000000003FFC: 7E5A412D
	v_exp_f32_e32 v46, v46                                     // 000000004000: 7E5C412E
	v_exp_f32_e32 v47, v47                                     // 000000004004: 7E5E412F
	v_mul_f32_e32 v14, v16, v14                                // 000000004008: 0A1C1D10
	v_mov_b32_e32 v22, v40                                     // 00000000400C: 7E2C0328
	v_add_f32_e32 v22, v41, v22                                // 000000004010: 022C2D29
	v_add_f32_e32 v22, v42, v22                                // 000000004014: 022C2D2A
	v_add_f32_e32 v22, v43, v22                                // 000000004018: 022C2D2B
	v_add_f32_e32 v22, v44, v22                                // 00000000401C: 022C2D2C
	v_add_f32_e32 v22, v45, v22                                // 000000004020: 022C2D2D
	v_add_f32_e32 v22, v46, v22                                // 000000004024: 022C2D2E
	v_add_f32_e32 v22, v47, v22                                // 000000004028: 022C2D2F
	v_add_f32_e32 v14, v22, v14                                // 00000000402C: 021C1D16
	v_cvt_pk_fp8_f32 v40, v40, v41                             // 000000004030: D2A20028 00025328
	v_cvt_pk_fp8_f32 v40, v42, v43 op_sel:[0,0,1]              // 000000004038: D2A24028 0002572A
	v_cvt_pk_fp8_f32 v41, v44, v45                             // 000000004040: D2A20029 00025B2C
	v_cvt_pk_fp8_f32 v41, v46, v47 op_sel:[0,0,1]              // 000000004048: D2A24029 00025F2E
	s_nop 0                                                    // 000000004050: BF800000
	s_cmp_le_i32 s83, s82                                      // 000000004054: BF055253
	s_cbranch_scc1 label_0791                                  // 000000004058: BF85003A
	v_mov_b32_e32 v25, 0xff800000                              // 00000000405C: 7E3202FF FF800000
	v_mov_b32_e32 v24, s82                                     // 000000004064: 7E300252
	s_sub_u32 s56, s83, 31                                     // 000000004068: 80B89F53
	v_lshrrev_b32_e32 v20, 4, v0                               // 00000000406C: 20280084
	v_mul_i32_i24_e32 v20, 4, v20                              // 000000004070: 0C282884
	v_add_u32_e32 v20, s56, v20                                // 000000004074: 68282838
	v_add_u32_e32 v21, 1, v20                                  // 000000004078: 682A2881
	v_add_u32_e32 v22, 2, v20                                  // 00000000407C: 682C2882
	v_add_u32_e32 v23, 3, v20                                  // 000000004080: 682E2883
	v_cmp_le_u32_e64 s[38:39], v20, v24                        // 000000004084: D0CB0026 00023114
	v_add_u32_e32 v20, 16, v20                                 // 00000000408C: 68282890
	s_nop 0                                                    // 000000004090: BF800000
	v_cndmask_b32_e64 v48, v25, v48, s[38:39]                  // 000000004094: D1000030 009A6119
	v_cmp_le_u32_e64 s[38:39], v21, v24                        // 00000000409C: D0CB0026 00023115
	v_add_u32_e32 v21, 16, v21                                 // 0000000040A4: 682A2A90
	s_nop 0                                                    // 0000000040A8: BF800000
	v_cndmask_b32_e64 v49, v25, v49, s[38:39]                  // 0000000040AC: D1000031 009A6319
	v_cmp_le_u32_e64 s[38:39], v22, v24                        // 0000000040B4: D0CB0026 00023116
	v_add_u32_e32 v22, 16, v22                                 // 0000000040BC: 682C2C90
	s_nop 0                                                    // 0000000040C0: BF800000
	v_cndmask_b32_e64 v50, v25, v50, s[38:39]                  // 0000000040C4: D1000032 009A6519
	v_cmp_le_u32_e64 s[38:39], v23, v24                        // 0000000040CC: D0CB0026 00023117
	v_add_u32_e32 v23, 16, v23                                 // 0000000040D4: 682E2E90
	s_nop 0                                                    // 0000000040D8: BF800000
	v_cndmask_b32_e64 v51, v25, v51, s[38:39]                  // 0000000040DC: D1000033 009A6719
	v_cmp_le_u32_e64 s[38:39], v20, v24                        // 0000000040E4: D0CB0026 00023114
	v_add_u32_e32 v20, 16, v20                                 // 0000000040EC: 68282890
	s_nop 0                                                    // 0000000040F0: BF800000
	v_cndmask_b32_e64 v52, v25, v52, s[38:39]                  // 0000000040F4: D1000034 009A6919
	v_cmp_le_u32_e64 s[38:39], v21, v24                        // 0000000040FC: D0CB0026 00023115
	v_add_u32_e32 v21, 16, v21                                 // 000000004104: 682A2A90
	s_nop 0                                                    // 000000004108: BF800000
	v_cndmask_b32_e64 v53, v25, v53, s[38:39]                  // 00000000410C: D1000035 009A6B19
	v_cmp_le_u32_e64 s[38:39], v22, v24                        // 000000004114: D0CB0026 00023116
	v_add_u32_e32 v22, 16, v22                                 // 00000000411C: 682C2C90
	s_nop 0                                                    // 000000004120: BF800000
	v_cndmask_b32_e64 v54, v25, v54, s[38:39]                  // 000000004124: D1000036 009A6D19
	v_cmp_le_u32_e64 s[38:39], v23, v24                        // 00000000412C: D0CB0026 00023117
	v_add_u32_e32 v23, 16, v23                                 // 000000004134: 682E2E90
	s_nop 0                                                    // 000000004138: BF800000
	v_cndmask_b32_e64 v55, v25, v55, s[38:39]                  // 00000000413C: D1000037 009A6F19

0000000000004144 <label_0791>:
	s_add_u32 s83, s84, s83                                    // 000000004144: 80535354
	s_nop 0                                                    // 000000004148: BF800000
	v_mul_u32_u24_dpp v18, v11, v9 row_newbcast:0 row_mask:0xf bank_mask:0xf// 00000000414C: 102412FA FF01500B
	v_mul_u32_u24_dpp v19, v11, v9 row_newbcast:8 row_mask:0xf bank_mask:0xf// 000000004154: 102612FA FF01580B
	v_add_u32_e32 v18, v18, v1                                 // 00000000415C: 68240312
	v_add_u32_e32 v19, v19, v1                                 // 000000004160: 68260313
	s_mov_b32 m0, s36                                          // 000000004164: BEFC0024
	v_mov_b32_e32 v22, v16                                     // 000000004168: 7E2C0310
	v_mov_b32_e32 v23, v16                                     // 00000000416C: 7E2E0310
	v_pk_mul_f32 v[56:57], v[22:23], v[56:57]                  // 000000004170: D3B14038 18027116
	v_pk_mul_f32 v[58:59], v[22:23], v[58:59]                  // 000000004178: D3B1403A 18027516
	v_pk_mul_f32 v[60:61], v[22:23], v[60:61]                  // 000000004180: D3B1403C 18027916
	v_pk_mul_f32 v[62:63], v[22:23], v[62:63]                  // 000000004188: D3B1403E 18027D16
	v_pk_mul_f32 v[64:65], v[22:23], v[64:65]                  // 000000004190: D3B14040 18028116
	v_pk_mul_f32 v[66:67], v[22:23], v[66:67]                  // 000000004198: D3B14042 18028516
	v_pk_mul_f32 v[68:69], v[22:23], v[68:69]                  // 0000000041A0: D3B14044 18028916
	v_pk_mul_f32 v[70:71], v[22:23], v[70:71]                  // 0000000041A8: D3B14046 18028D16
	v_pk_mul_f32 v[72:73], v[22:23], v[72:73]                  // 0000000041B0: D3B14048 18029116
	v_pk_mul_f32 v[74:75], v[22:23], v[74:75]                  // 0000000041B8: D3B1404A 18029516
	v_pk_mul_f32 v[76:77], v[22:23], v[76:77]                  // 0000000041C0: D3B1404C 18029916
	v_pk_mul_f32 v[78:79], v[22:23], v[78:79]                  // 0000000041C8: D3B1404E 18029D16
	v_pk_mul_f32 v[80:81], v[22:23], v[80:81]                  // 0000000041D0: D3B14050 1802A116
	v_pk_mul_f32 v[82:83], v[22:23], v[82:83]                  // 0000000041D8: D3B14052 1802A516
	v_pk_mul_f32 v[84:85], v[22:23], v[84:85]                  // 0000000041E0: D3B14054 1802A916
	v_pk_mul_f32 v[86:87], v[22:23], v[86:87]                  // 0000000041E8: D3B14056 1802AD16
	v_pk_mul_f32 v[88:89], v[22:23], v[88:89]                  // 0000000041F0: D3B14058 1802B116
	v_pk_mul_f32 v[90:91], v[22:23], v[90:91]                  // 0000000041F8: D3B1405A 1802B516
	v_pk_mul_f32 v[92:93], v[22:23], v[92:93]                  // 000000004200: D3B1405C 1802B916
	v_pk_mul_f32 v[94:95], v[22:23], v[94:95]                  // 000000004208: D3B1405E 1802BD16
	v_pk_mul_f32 v[96:97], v[22:23], v[96:97]                  // 000000004210: D3B14060 1802C116
	v_pk_mul_f32 v[98:99], v[22:23], v[98:99]                  // 000000004218: D3B14062 1802C516
	v_pk_mul_f32 v[100:101], v[22:23], v[100:101]              // 000000004220: D3B14064 1802C916
	v_pk_mul_f32 v[102:103], v[22:23], v[102:103]              // 000000004228: D3B14066 1802CD16
	v_pk_mul_f32 v[104:105], v[22:23], v[104:105]              // 000000004230: D3B14068 1802D116
	v_pk_mul_f32 v[106:107], v[22:23], v[106:107]              // 000000004238: D3B1406A 1802D516
	v_pk_mul_f32 v[108:109], v[22:23], v[108:109]              // 000000004240: D3B1406C 1802D916
	v_pk_mul_f32 v[110:111], v[22:23], v[110:111]              // 000000004248: D3B1406E 1802DD16
	v_pk_mul_f32 v[112:113], v[22:23], v[112:113]              // 000000004250: D3B14070 1802E116
	v_pk_mul_f32 v[114:115], v[22:23], v[114:115]              // 000000004258: D3B14072 1802E516
	v_pk_mul_f32 v[116:117], v[22:23], v[116:117]              // 000000004260: D3B14074 1802E916
	v_pk_mul_f32 v[118:119], v[22:23], v[118:119]              // 000000004268: D3B14076 1802ED16
	v_pk_mul_f32 v[120:121], v[22:23], v[120:121]              // 000000004270: D3B14078 1802F116
	v_pk_mul_f32 v[122:123], v[22:23], v[122:123]              // 000000004278: D3B1407A 1802F516
	v_pk_mul_f32 v[124:125], v[22:23], v[124:125]              // 000000004280: D3B1407C 1802F916
	v_pk_mul_f32 v[126:127], v[22:23], v[126:127]              // 000000004288: D3B1407E 1802FD16
	v_pk_mul_f32 v[128:129], v[22:23], v[128:129]              // 000000004290: D3B14080 18030116
	v_pk_mul_f32 v[130:131], v[22:23], v[130:131]              // 000000004298: D3B14082 18030516
	v_pk_mul_f32 v[132:133], v[22:23], v[132:133]              // 0000000042A0: D3B14084 18030916
	v_pk_mul_f32 v[134:135], v[22:23], v[134:135]              // 0000000042A8: D3B14086 18030D16
	v_pk_mul_f32 v[136:137], v[22:23], v[136:137]              // 0000000042B0: D3B14088 18031116
	v_pk_mul_f32 v[138:139], v[22:23], v[138:139]              // 0000000042B8: D3B1408A 18031516
	v_pk_mul_f32 v[140:141], v[22:23], v[140:141]              // 0000000042C0: D3B1408C 18031916
	v_pk_mul_f32 v[142:143], v[22:23], v[142:143]              // 0000000042C8: D3B1408E 18031D16
	v_pk_mul_f32 v[144:145], v[22:23], v[144:145]              // 0000000042D0: D3B14090 18032116
	v_pk_mul_f32 v[146:147], v[22:23], v[146:147]              // 0000000042D8: D3B14092 18032516
	v_pk_mul_f32 v[148:149], v[22:23], v[148:149]              // 0000000042E0: D3B14094 18032916
	v_pk_mul_f32 v[150:151], v[22:23], v[150:151]              // 0000000042E8: D3B14096 18032D16
	v_pk_mul_f32 v[152:153], v[22:23], v[152:153]              // 0000000042F0: D3B14098 18033116
	v_pk_mul_f32 v[154:155], v[22:23], v[154:155]              // 0000000042F8: D3B1409A 18033516
	v_accvgpr_read_b32 v20, a144                               // 000000004300: D3D84014 18000190
	v_accvgpr_read_b32 v21, a145                               // 000000004308: D3D84015 18000191
	v_pk_mul_f32 v[20:21], v[22:23], v[20:21]                  // 000000004310: D3B14014 18022916
	v_accvgpr_write_b32 a144, v20                              // 000000004318: D3D94090 18000114
	v_accvgpr_write_b32 a145, v21                              // 000000004320: D3D94091 18000115
	v_accvgpr_read_b32 v20, a146                               // 000000004328: D3D84014 18000192
	v_accvgpr_read_b32 v21, a147                               // 000000004330: D3D84015 18000193
	v_pk_mul_f32 v[20:21], v[22:23], v[20:21]                  // 000000004338: D3B14014 18022916
	v_accvgpr_write_b32 a146, v20                              // 000000004340: D3D94092 18000114
	v_accvgpr_write_b32 a147, v21                              // 000000004348: D3D94093 18000115
	v_accvgpr_read_b32 v20, a148                               // 000000004350: D3D84014 18000194
	v_accvgpr_read_b32 v21, a149                               // 000000004358: D3D84015 18000195
	v_pk_mul_f32 v[20:21], v[22:23], v[20:21]                  // 000000004360: D3B14014 18022916
	v_accvgpr_write_b32 a148, v20                              // 000000004368: D3D94094 18000114
	v_accvgpr_write_b32 a149, v21                              // 000000004370: D3D94095 18000115
	v_accvgpr_read_b32 v20, a150                               // 000000004378: D3D84014 18000196
	v_accvgpr_read_b32 v21, a151                               // 000000004380: D3D84015 18000197
	v_pk_mul_f32 v[20:21], v[22:23], v[20:21]                  // 000000004388: D3B14014 18022916
	v_accvgpr_write_b32 a150, v20                              // 000000004390: D3D94096 18000114
	v_accvgpr_write_b32 a151, v21                              // 000000004398: D3D94097 18000115
	v_accvgpr_read_b32 v20, a152                               // 0000000043A0: D3D84014 18000198
	v_accvgpr_read_b32 v21, a153                               // 0000000043A8: D3D84015 18000199
	v_pk_mul_f32 v[20:21], v[22:23], v[20:21]                  // 0000000043B0: D3B14014 18022916
	v_accvgpr_write_b32 a152, v20                              // 0000000043B8: D3D94098 18000114
	v_accvgpr_write_b32 a153, v21                              // 0000000043C0: D3D94099 18000115
	v_accvgpr_read_b32 v20, a154                               // 0000000043C8: D3D84014 1800019A
	v_accvgpr_read_b32 v21, a155                               // 0000000043D0: D3D84015 1800019B
	v_pk_mul_f32 v[20:21], v[22:23], v[20:21]                  // 0000000043D8: D3B14014 18022916
	v_accvgpr_write_b32 a154, v20                              // 0000000043E0: D3D9409A 18000114
	v_accvgpr_write_b32 a155, v21                              // 0000000043E8: D3D9409B 18000115
	v_accvgpr_read_b32 v20, a156                               // 0000000043F0: D3D84014 1800019C
	v_accvgpr_read_b32 v21, a157                               // 0000000043F8: D3D84015 1800019D
	v_pk_mul_f32 v[20:21], v[22:23], v[20:21]                  // 000000004400: D3B14014 18022916
	v_accvgpr_write_b32 a156, v20                              // 000000004408: D3D9409C 18000114
	v_accvgpr_write_b32 a157, v21                              // 000000004410: D3D9409D 18000115
	v_accvgpr_read_b32 v20, a158                               // 000000004418: D3D84014 1800019E
	v_accvgpr_read_b32 v21, a159                               // 000000004420: D3D84015 1800019F
	v_pk_mul_f32 v[20:21], v[22:23], v[20:21]                  // 000000004428: D3B14014 18022916
	v_accvgpr_write_b32 a158, v20                              // 000000004430: D3D9409E 18000114
	v_accvgpr_write_b32 a159, v21                              // 000000004438: D3D9409F 18000115
	v_accvgpr_read_b32 v20, a160                               // 000000004440: D3D84014 180001A0
	v_accvgpr_read_b32 v21, a161                               // 000000004448: D3D84015 180001A1
	v_pk_mul_f32 v[20:21], v[22:23], v[20:21]                  // 000000004450: D3B14014 18022916
	v_accvgpr_write_b32 a160, v20                              // 000000004458: D3D940A0 18000114
	v_accvgpr_write_b32 a161, v21                              // 000000004460: D3D940A1 18000115
	v_accvgpr_read_b32 v20, a162                               // 000000004468: D3D84014 180001A2
	v_accvgpr_read_b32 v21, a163                               // 000000004470: D3D84015 180001A3
	v_pk_mul_f32 v[20:21], v[22:23], v[20:21]                  // 000000004478: D3B14014 18022916
	v_accvgpr_write_b32 a162, v20                              // 000000004480: D3D940A2 18000114
	v_accvgpr_write_b32 a163, v21                              // 000000004488: D3D940A3 18000115
	v_accvgpr_read_b32 v20, a164                               // 000000004490: D3D84014 180001A4
	v_accvgpr_read_b32 v21, a165                               // 000000004498: D3D84015 180001A5
	v_pk_mul_f32 v[20:21], v[22:23], v[20:21]                  // 0000000044A0: D3B14014 18022916
	v_accvgpr_write_b32 a164, v20                              // 0000000044A8: D3D940A4 18000114
	v_accvgpr_write_b32 a165, v21                              // 0000000044B0: D3D940A5 18000115
	v_accvgpr_read_b32 v20, a166                               // 0000000044B8: D3D84014 180001A6
	v_accvgpr_read_b32 v21, a167                               // 0000000044C0: D3D84015 180001A7
	v_pk_mul_f32 v[20:21], v[22:23], v[20:21]                  // 0000000044C8: D3B14014 18022916
	v_accvgpr_write_b32 a166, v20                              // 0000000044D0: D3D940A6 18000114
	v_accvgpr_write_b32 a167, v21                              // 0000000044D8: D3D940A7 18000115
	v_accvgpr_read_b32 v20, a168                               // 0000000044E0: D3D84014 180001A8
	v_accvgpr_read_b32 v21, a169                               // 0000000044E8: D3D84015 180001A9
	v_pk_mul_f32 v[20:21], v[22:23], v[20:21]                  // 0000000044F0: D3B14014 18022916
	v_accvgpr_write_b32 a168, v20                              // 0000000044F8: D3D940A8 18000114
	v_accvgpr_write_b32 a169, v21                              // 000000004500: D3D940A9 18000115
	v_accvgpr_read_b32 v20, a170                               // 000000004508: D3D84014 180001AA
	v_accvgpr_read_b32 v21, a171                               // 000000004510: D3D84015 180001AB
	v_pk_mul_f32 v[20:21], v[22:23], v[20:21]                  // 000000004518: D3B14014 18022916
	v_accvgpr_write_b32 a170, v20                              // 000000004520: D3D940AA 18000114
	v_accvgpr_write_b32 a171, v21                              // 000000004528: D3D940AB 18000115
	s_waitcnt lgkmcnt(0)                                       // 000000004530: BF8CC07F
	v_mfma_f32_16x16x32_fp8_fp8 v[56:59], a[72:73], v[40:41], v[56:59]// 000000004534: D3F30038 0CE25148
	ds_read_b128 a[104:107], v7 offset:45312                   // 00000000453C: DBFEB100 68000007
	ds_read_b128 a[108:111], v7 offset:46336                   // 000000004544: DBFEB500 6C000007
	v_mfma_f32_16x16x32_fp8_fp8 v[60:63], a[74:75], v[40:41], v[60:63]// 00000000454C: D3F3003C 0CF2514A
	v_mfma_f32_16x16x32_fp8_fp8 v[64:67], a[76:77], v[40:41], v[64:67]// 000000004554: D3F30040 0D02514C
	v_mfma_f32_16x16x32_fp8_fp8 v[68:71], a[78:79], v[40:41], v[68:71]// 00000000455C: D3F30044 0D12514E
	v_mfma_f32_16x16x32_fp8_fp8 v[72:75], a[80:81], v[40:41], v[72:75]// 000000004564: D3F30048 0D225150
	ds_read_b128 a[112:115], v7 offset:47360                   // 00000000456C: DBFEB900 70000007
	ds_read_b128 a[116:119], v7 offset:48384                   // 000000004574: DBFEBD00 74000007
	v_mfma_f32_16x16x32_fp8_fp8 v[76:79], a[82:83], v[40:41], v[76:79]// 00000000457C: D3F3004C 0D325152
	v_mfma_f32_16x16x32_fp8_fp8 v[80:83], a[84:85], v[40:41], v[80:83]// 000000004584: D3F30050 0D425154
	v_mfma_f32_16x16x32_fp8_fp8 v[84:87], a[86:87], v[40:41], v[84:87]// 00000000458C: D3F30054 0D525156
	v_mfma_f32_16x16x32_fp8_fp8 v[88:91], a[88:89], v[40:41], v[88:91]// 000000004594: D3F30058 0D625158
	ds_read_b128 a[120:123], v7 offset:49408                   // 00000000459C: DBFEC100 78000007
	ds_read_b128 a[124:127], v7 offset:50432                   // 0000000045A4: DBFEC500 7C000007
	v_mfma_f32_16x16x32_fp8_fp8 v[92:95], a[90:91], v[40:41], v[92:95]// 0000000045AC: D3F3005C 0D72515A
	v_mfma_f32_16x16x32_fp8_fp8 v[96:99], a[92:93], v[40:41], v[96:99]// 0000000045B4: D3F30060 0D82515C
	v_mfma_f32_16x16x32_fp8_fp8 v[100:103], a[94:95], v[40:41], v[100:103]// 0000000045BC: D3F30064 0D92515E
	v_mfma_f32_16x16x32_fp8_fp8 v[104:107], a[96:97], v[40:41], v[104:107]// 0000000045C4: D3F30068 0DA25160
	ds_read_b128 a[128:131], v7 offset:51456                   // 0000000045CC: DBFEC900 80000007
	ds_read_b128 a[132:135], v7 offset:52480                   // 0000000045D4: DBFECD00 84000007
	v_mfma_f32_16x16x32_fp8_fp8 v[108:111], a[98:99], v[40:41], v[108:111]// 0000000045DC: D3F3006C 0DB25162
	v_mfma_f32_16x16x32_fp8_fp8 v[112:115], a[100:101], v[40:41], v[112:115]// 0000000045E4: D3F30070 0DC25164
	v_mfma_f32_16x16x32_fp8_fp8 v[116:119], a[102:103], v[40:41], v[116:119]// 0000000045EC: D3F30074 0DD25166
	s_waitcnt lgkmcnt(4)                                       // 0000000045F4: BF8CC47F
	v_mfma_f32_16x16x32_fp8_fp8 v[120:123], a[104:105], v[40:41], v[120:123]// 0000000045F8: D3F30078 0DE25168
	v_max3_f32 v24, v48, v49, v48                              // 000000004600: D1D30018 04C26330
	v_max3_f32 v24, v50, v51, v24                              // 000000004608: D1D30018 04626732
	v_max3_f32 v24, v52, v53, v24                              // 000000004610: D1D30018 04626B34
	v_max3_f32 v24, v54, v55, v24                              // 000000004618: D1D30018 04626F36
	ds_write_b32 v3, v24 offset:54528                          // 000000004620: D81AD500 00001803
	v_mfma_f32_16x16x32_fp8_fp8 v[124:127], a[106:107], v[40:41], v[124:127]// 000000004628: D3F3007C 0DF2516A
	v_mfma_f32_16x16x32_fp8_fp8 v[128:131], a[108:109], v[40:41], v[128:131]// 000000004630: D3F30080 0E02516C
	v_mfma_f32_16x16x32_fp8_fp8 v[132:135], a[110:111], v[40:41], v[132:135]// 000000004638: D3F30084 0E12516E
	v_mfma_f32_16x16x32_fp8_fp8 v[136:139], a[112:113], v[40:41], v[136:139]// 000000004640: D3F30088 0E225170
	v_mfma_f32_16x16x32_fp8_fp8 v[140:143], a[114:115], v[40:41], v[140:143]// 000000004648: D3F3008C 0E325172
	v_mfma_f32_16x16x32_fp8_fp8 v[144:147], a[116:117], v[40:41], v[144:147]// 000000004650: D3F30090 0E425174
	v_mfma_f32_16x16x32_fp8_fp8 v[148:151], a[118:119], v[40:41], v[148:151]// 000000004658: D3F30094 0E525176
	s_waitcnt lgkmcnt(0)                                       // 000000004660: BF8CC07F
	v_mfma_f32_16x16x32_fp8_fp8 v[152:155], a[120:121], v[40:41], v[152:155]// 000000004664: D3F30098 0E625178
	s_waitcnt lgkmcnt(0)                                       // 00000000466C: BF8CC07F
	ds_read_b32 v20, v2 offset:54528                           // 000000004670: D86CD500 14000002
	ds_read_b32 v21, v2 offset:54592                           // 000000004678: D86CD540 15000002
	v_mfma_f32_16x16x32_fp8_fp8 a[144:147], a[122:123], v[40:41], a[144:147]// 000000004680: D3F38090 0E42517A
	ds_read_b32 v22, v2 offset:54656                           // 000000004688: D86CD580 16000002
	ds_read_b32 v23, v2 offset:54720                           // 000000004690: D86CD5C0 17000002
	v_mfma_f32_16x16x32_fp8_fp8 a[148:151], a[124:125], v[40:41], a[148:151]// 000000004698: D3F38094 0E52517C
	v_mfma_f32_16x16x32_fp8_fp8 a[152:155], a[126:127], v[40:41], a[152:155]// 0000000046A0: D3F38098 0E62517E
	v_mfma_f32_16x16x32_fp8_fp8 a[156:159], a[128:129], v[40:41], a[156:159]// 0000000046A8: D3F3809C 0E725180
	v_mfma_f32_16x16x32_fp8_fp8 a[160:163], a[130:131], v[40:41], a[160:163]// 0000000046B0: D3F380A0 0E825182
	v_mfma_f32_16x16x32_fp8_fp8 a[164:167], a[132:133], v[40:41], a[164:167]// 0000000046B8: D3F380A4 0E925184
	v_mfma_f32_16x16x32_fp8_fp8 a[168:171], a[134:135], v[40:41], a[168:171]// 0000000046C0: D3F380A8 0EA25186
	s_waitcnt lgkmcnt(0)                                       // 0000000046C8: BF8CC07F
	v_max3_f32 v24, v20, v21, v24                              // 0000000046CC: D1D30018 04622B14
	v_max3_f32 v24, v22, v23, v24                              // 0000000046D4: D1D30018 04622F16
	v_mov_b32_e32 v25, 0xff7fffff                              // 0000000046DC: 7E3202FF FF7FFFFF
	v_cmp_eq_u32_e64 s[38:39], v25, v13                        // 0000000046E4: D0CA0026 00021B19
	v_max_f32_e32 v20, v24, v13                                // 0000000046EC: 16281B18
	v_sub_f32_e32 v17, v13, v20                                // 0000000046F0: 0422290D
	v_cndmask_b32_e64 v17, v17, 0, s[38:39]                    // 0000000046F4: D1000011 00990111
	v_mov_b32_e32 v13, v20                                     // 0000000046FC: 7E1A0314
	v_mul_f32_e32 v21, s5, v20                                 // 000000004700: 0A2A2805
	v_mul_f32_e32 v17, s5, v17                                 // 000000004704: 0A222205
	v_exp_f32_e32 v17, v17                                     // 000000004708: 7E224111
	v_fma_f32 v48, v48, s5, -v21                               // 00000000470C: D1CB0030 84540B30
	v_fma_f32 v49, v49, s5, -v21                               // 000000004714: D1CB0031 84540B31
	v_fma_f32 v50, v50, s5, -v21                               // 00000000471C: D1CB0032 84540B32
	v_fma_f32 v51, v51, s5, -v21                               // 000000004724: D1CB0033 84540B33
	v_fma_f32 v52, v52, s5, -v21                               // 00000000472C: D1CB0034 84540B34
	v_fma_f32 v53, v53, s5, -v21                               // 000000004734: D1CB0035 84540B35
	v_fma_f32 v54, v54, s5, -v21                               // 00000000473C: D1CB0036 84540B36
	v_fma_f32 v55, v55, s5, -v21                               // 000000004744: D1CB0037 84540B37
	v_exp_f32_e32 v48, v48                                     // 00000000474C: 7E604130
	v_exp_f32_e32 v49, v49                                     // 000000004750: 7E624131
	v_exp_f32_e32 v50, v50                                     // 000000004754: 7E644132
	v_exp_f32_e32 v51, v51                                     // 000000004758: 7E664133
	v_exp_f32_e32 v52, v52                                     // 00000000475C: 7E684134
	v_exp_f32_e32 v53, v53                                     // 000000004760: 7E6A4135
	v_exp_f32_e32 v54, v54                                     // 000000004764: 7E6C4136
	v_exp_f32_e32 v55, v55                                     // 000000004768: 7E6E4137
	v_mul_f32_e32 v15, v17, v15                                // 00000000476C: 0A1E1F11
	v_mov_b32_e32 v22, v48                                     // 000000004770: 7E2C0330
	v_add_f32_e32 v22, v49, v22                                // 000000004774: 022C2D31
	v_add_f32_e32 v22, v50, v22                                // 000000004778: 022C2D32
	v_add_f32_e32 v22, v51, v22                                // 00000000477C: 022C2D33
	v_add_f32_e32 v22, v52, v22                                // 000000004780: 022C2D34
	v_add_f32_e32 v22, v53, v22                                // 000000004784: 022C2D35
	v_add_f32_e32 v22, v54, v22                                // 000000004788: 022C2D36
	v_add_f32_e32 v22, v55, v22                                // 00000000478C: 022C2D37
	v_add_f32_e32 v15, v22, v15                                // 000000004790: 021E1F16
	v_cvt_pk_fp8_f32 v42, v48, v49                             // 000000004794: D2A2002A 00026330
	v_cvt_pk_fp8_f32 v42, v50, v51 op_sel:[0,0,1]              // 00000000479C: D2A2402A 00026732
	v_cvt_pk_fp8_f32 v43, v52, v53                             // 0000000047A4: D2A2002B 00026B34
	v_cvt_pk_fp8_f32 v43, v54, v55 op_sel:[0,0,1]              // 0000000047AC: D2A2402B 00026F36
	s_nop 0                                                    // 0000000047B4: BF800000
	v_mov_b32_e32 v22, v17                                     // 0000000047B8: 7E2C0311
	v_mov_b32_e32 v23, v17                                     // 0000000047BC: 7E2E0311
	v_pk_mul_f32 v[156:157], v[22:23], v[156:157]              // 0000000047C0: D3B1409C 18033916
	v_pk_mul_f32 v[158:159], v[22:23], v[158:159]              // 0000000047C8: D3B1409E 18033D16
	v_pk_mul_f32 v[160:161], v[22:23], v[160:161]              // 0000000047D0: D3B140A0 18034116
	v_pk_mul_f32 v[162:163], v[22:23], v[162:163]              // 0000000047D8: D3B140A2 18034516
	v_pk_mul_f32 v[164:165], v[22:23], v[164:165]              // 0000000047E0: D3B140A4 18034916
	v_pk_mul_f32 v[166:167], v[22:23], v[166:167]              // 0000000047E8: D3B140A6 18034D16
	v_pk_mul_f32 v[168:169], v[22:23], v[168:169]              // 0000000047F0: D3B140A8 18035116
	v_pk_mul_f32 v[170:171], v[22:23], v[170:171]              // 0000000047F8: D3B140AA 18035516
	v_pk_mul_f32 v[172:173], v[22:23], v[172:173]              // 000000004800: D3B140AC 18035916
	v_pk_mul_f32 v[174:175], v[22:23], v[174:175]              // 000000004808: D3B140AE 18035D16
	v_pk_mul_f32 v[176:177], v[22:23], v[176:177]              // 000000004810: D3B140B0 18036116
	v_pk_mul_f32 v[178:179], v[22:23], v[178:179]              // 000000004818: D3B140B2 18036516
	v_pk_mul_f32 v[180:181], v[22:23], v[180:181]              // 000000004820: D3B140B4 18036916
	v_pk_mul_f32 v[182:183], v[22:23], v[182:183]              // 000000004828: D3B140B6 18036D16
	v_pk_mul_f32 v[184:185], v[22:23], v[184:185]              // 000000004830: D3B140B8 18037116
	v_pk_mul_f32 v[186:187], v[22:23], v[186:187]              // 000000004838: D3B140BA 18037516
	v_pk_mul_f32 v[188:189], v[22:23], v[188:189]              // 000000004840: D3B140BC 18037916
	v_pk_mul_f32 v[190:191], v[22:23], v[190:191]              // 000000004848: D3B140BE 18037D16
	v_pk_mul_f32 v[192:193], v[22:23], v[192:193]              // 000000004850: D3B140C0 18038116
	v_pk_mul_f32 v[194:195], v[22:23], v[194:195]              // 000000004858: D3B140C2 18038516
	v_pk_mul_f32 v[196:197], v[22:23], v[196:197]              // 000000004860: D3B140C4 18038916
	v_pk_mul_f32 v[198:199], v[22:23], v[198:199]              // 000000004868: D3B140C6 18038D16
	v_pk_mul_f32 v[200:201], v[22:23], v[200:201]              // 000000004870: D3B140C8 18039116
	v_pk_mul_f32 v[202:203], v[22:23], v[202:203]              // 000000004878: D3B140CA 18039516
	v_pk_mul_f32 v[204:205], v[22:23], v[204:205]              // 000000004880: D3B140CC 18039916
	v_pk_mul_f32 v[206:207], v[22:23], v[206:207]              // 000000004888: D3B140CE 18039D16
	v_pk_mul_f32 v[208:209], v[22:23], v[208:209]              // 000000004890: D3B140D0 1803A116
	v_pk_mul_f32 v[210:211], v[22:23], v[210:211]              // 000000004898: D3B140D2 1803A516
	v_pk_mul_f32 v[212:213], v[22:23], v[212:213]              // 0000000048A0: D3B140D4 1803A916
	v_pk_mul_f32 v[214:215], v[22:23], v[214:215]              // 0000000048A8: D3B140D6 1803AD16
	v_pk_mul_f32 v[216:217], v[22:23], v[216:217]              // 0000000048B0: D3B140D8 1803B116
	v_pk_mul_f32 v[218:219], v[22:23], v[218:219]              // 0000000048B8: D3B140DA 1803B516
	v_pk_mul_f32 v[220:221], v[22:23], v[220:221]              // 0000000048C0: D3B140DC 1803B916
	v_pk_mul_f32 v[222:223], v[22:23], v[222:223]              // 0000000048C8: D3B140DE 1803BD16
	v_pk_mul_f32 v[224:225], v[22:23], v[224:225]              // 0000000048D0: D3B140E0 1803C116
	v_pk_mul_f32 v[226:227], v[22:23], v[226:227]              // 0000000048D8: D3B140E2 1803C516
	v_pk_mul_f32 v[228:229], v[22:23], v[228:229]              // 0000000048E0: D3B140E4 1803C916
	v_pk_mul_f32 v[230:231], v[22:23], v[230:231]              // 0000000048E8: D3B140E6 1803CD16
	v_pk_mul_f32 v[232:233], v[22:23], v[232:233]              // 0000000048F0: D3B140E8 1803D116
	v_pk_mul_f32 v[234:235], v[22:23], v[234:235]              // 0000000048F8: D3B140EA 1803D516
	v_pk_mul_f32 v[236:237], v[22:23], v[236:237]              // 000000004900: D3B140EC 1803D916
	v_pk_mul_f32 v[238:239], v[22:23], v[238:239]              // 000000004908: D3B140EE 1803DD16
	v_pk_mul_f32 v[240:241], v[22:23], v[240:241]              // 000000004910: D3B140F0 1803E116
	v_pk_mul_f32 v[242:243], v[22:23], v[242:243]              // 000000004918: D3B140F2 1803E516
	v_pk_mul_f32 v[244:245], v[22:23], v[244:245]              // 000000004920: D3B140F4 1803E916
	v_pk_mul_f32 v[246:247], v[22:23], v[246:247]              // 000000004928: D3B140F6 1803ED16
	v_pk_mul_f32 v[248:249], v[22:23], v[248:249]              // 000000004930: D3B140F8 1803F116
	v_pk_mul_f32 v[250:251], v[22:23], v[250:251]              // 000000004938: D3B140FA 1803F516
	v_pk_mul_f32 v[252:253], v[22:23], v[252:253]              // 000000004940: D3B140FC 1803F916
	v_pk_mul_f32 v[254:255], v[22:23], v[254:255]              // 000000004948: D3B140FE 1803FD16
	v_accvgpr_read_b32 v20, a172                               // 000000004950: D3D84014 180001AC
	v_accvgpr_read_b32 v21, a173                               // 000000004958: D3D84015 180001AD
	v_pk_mul_f32 v[20:21], v[22:23], v[20:21]                  // 000000004960: D3B14014 18022916
	v_accvgpr_write_b32 a172, v20                              // 000000004968: D3D940AC 18000114
	v_accvgpr_write_b32 a173, v21                              // 000000004970: D3D940AD 18000115
	v_accvgpr_read_b32 v20, a174                               // 000000004978: D3D84014 180001AE
	v_accvgpr_read_b32 v21, a175                               // 000000004980: D3D84015 180001AF
	v_pk_mul_f32 v[20:21], v[22:23], v[20:21]                  // 000000004988: D3B14014 18022916
	v_accvgpr_write_b32 a174, v20                              // 000000004990: D3D940AE 18000114
	v_accvgpr_write_b32 a175, v21                              // 000000004998: D3D940AF 18000115
	v_accvgpr_read_b32 v20, a176                               // 0000000049A0: D3D84014 180001B0
	v_accvgpr_read_b32 v21, a177                               // 0000000049A8: D3D84015 180001B1
	v_pk_mul_f32 v[20:21], v[22:23], v[20:21]                  // 0000000049B0: D3B14014 18022916
	v_accvgpr_write_b32 a176, v20                              // 0000000049B8: D3D940B0 18000114
	v_accvgpr_write_b32 a177, v21                              // 0000000049C0: D3D940B1 18000115
	v_accvgpr_read_b32 v20, a178                               // 0000000049C8: D3D84014 180001B2
	v_accvgpr_read_b32 v21, a179                               // 0000000049D0: D3D84015 180001B3
	v_pk_mul_f32 v[20:21], v[22:23], v[20:21]                  // 0000000049D8: D3B14014 18022916
	v_accvgpr_write_b32 a178, v20                              // 0000000049E0: D3D940B2 18000114
	v_accvgpr_write_b32 a179, v21                              // 0000000049E8: D3D940B3 18000115
	v_accvgpr_read_b32 v20, a180                               // 0000000049F0: D3D84014 180001B4
	v_accvgpr_read_b32 v21, a181                               // 0000000049F8: D3D84015 180001B5
	v_pk_mul_f32 v[20:21], v[22:23], v[20:21]                  // 000000004A00: D3B14014 18022916
	v_accvgpr_write_b32 a180, v20                              // 000000004A08: D3D940B4 18000114
	v_accvgpr_write_b32 a181, v21                              // 000000004A10: D3D940B5 18000115
	v_accvgpr_read_b32 v20, a182                               // 000000004A18: D3D84014 180001B6
	v_accvgpr_read_b32 v21, a183                               // 000000004A20: D3D84015 180001B7
	v_pk_mul_f32 v[20:21], v[22:23], v[20:21]                  // 000000004A28: D3B14014 18022916
	v_accvgpr_write_b32 a182, v20                              // 000000004A30: D3D940B6 18000114
	v_accvgpr_write_b32 a183, v21                              // 000000004A38: D3D940B7 18000115
	v_accvgpr_read_b32 v20, a184                               // 000000004A40: D3D84014 180001B8
	v_accvgpr_read_b32 v21, a185                               // 000000004A48: D3D84015 180001B9
	v_pk_mul_f32 v[20:21], v[22:23], v[20:21]                  // 000000004A50: D3B14014 18022916
	v_accvgpr_write_b32 a184, v20                              // 000000004A58: D3D940B8 18000114
	v_accvgpr_write_b32 a185, v21                              // 000000004A60: D3D940B9 18000115
	v_accvgpr_read_b32 v20, a186                               // 000000004A68: D3D84014 180001BA
	v_accvgpr_read_b32 v21, a187                               // 000000004A70: D3D84015 180001BB
	v_pk_mul_f32 v[20:21], v[22:23], v[20:21]                  // 000000004A78: D3B14014 18022916
	v_accvgpr_write_b32 a186, v20                              // 000000004A80: D3D940BA 18000114
	v_accvgpr_write_b32 a187, v21                              // 000000004A88: D3D940BB 18000115
	v_accvgpr_read_b32 v20, a188                               // 000000004A90: D3D84014 180001BC
	v_accvgpr_read_b32 v21, a189                               // 000000004A98: D3D84015 180001BD
	v_pk_mul_f32 v[20:21], v[22:23], v[20:21]                  // 000000004AA0: D3B14014 18022916
	v_accvgpr_write_b32 a188, v20                              // 000000004AA8: D3D940BC 18000114
	v_accvgpr_write_b32 a189, v21                              // 000000004AB0: D3D940BD 18000115
	v_accvgpr_read_b32 v20, a190                               // 000000004AB8: D3D84014 180001BE
	v_accvgpr_read_b32 v21, a191                               // 000000004AC0: D3D84015 180001BF
	v_pk_mul_f32 v[20:21], v[22:23], v[20:21]                  // 000000004AC8: D3B14014 18022916
	v_accvgpr_write_b32 a190, v20                              // 000000004AD0: D3D940BE 18000114
	v_accvgpr_write_b32 a191, v21                              // 000000004AD8: D3D940BF 18000115
	v_accvgpr_read_b32 v20, a192                               // 000000004AE0: D3D84014 180001C0
	v_accvgpr_read_b32 v21, a193                               // 000000004AE8: D3D84015 180001C1
	v_pk_mul_f32 v[20:21], v[22:23], v[20:21]                  // 000000004AF0: D3B14014 18022916
	v_accvgpr_write_b32 a192, v20                              // 000000004AF8: D3D940C0 18000114
	v_accvgpr_write_b32 a193, v21                              // 000000004B00: D3D940C1 18000115
	v_accvgpr_read_b32 v20, a194                               // 000000004B08: D3D84014 180001C2
	v_accvgpr_read_b32 v21, a195                               // 000000004B10: D3D84015 180001C3
	v_pk_mul_f32 v[20:21], v[22:23], v[20:21]                  // 000000004B18: D3B14014 18022916
	v_accvgpr_write_b32 a194, v20                              // 000000004B20: D3D940C2 18000114
	v_accvgpr_write_b32 a195, v21                              // 000000004B28: D3D940C3 18000115
	v_accvgpr_read_b32 v20, a196                               // 000000004B30: D3D84014 180001C4
	v_accvgpr_read_b32 v21, a197                               // 000000004B38: D3D84015 180001C5
	v_pk_mul_f32 v[20:21], v[22:23], v[20:21]                  // 000000004B40: D3B14014 18022916
	v_accvgpr_write_b32 a196, v20                              // 000000004B48: D3D940C4 18000114
	v_accvgpr_write_b32 a197, v21                              // 000000004B50: D3D940C5 18000115
	v_accvgpr_read_b32 v20, a198                               // 000000004B58: D3D84014 180001C6
	v_accvgpr_read_b32 v21, a199                               // 000000004B60: D3D84015 180001C7
	v_pk_mul_f32 v[20:21], v[22:23], v[20:21]                  // 000000004B68: D3B14014 18022916
	v_accvgpr_write_b32 a198, v20                              // 000000004B70: D3D940C6 18000114
	v_accvgpr_write_b32 a199, v21                              // 000000004B78: D3D940C7 18000115
	s_waitcnt vmcnt(18) lgkmcnt(0)                             // 000000004B80: BF8C4072
	s_barrier                                                  // 000000004B84: BF8A0000
	v_mfma_f32_16x16x32_fp8_fp8 v[156:159], a[72:73], v[42:43], v[156:159]// 000000004B88: D3F3009C 0E725548
	v_mfma_f32_16x16x32_fp8_fp8 v[160:163], a[74:75], v[42:43], v[160:163]// 000000004B90: D3F300A0 0E82554A
	ds_read_b32 v20, v5 offset:18560                           // 000000004B98: D86C4880 14000005
	ds_read_b32 v21, v5 offset:23200                           // 000000004BA0: D86C5AA0 15000005
	ds_read_b32 v22, v5 offset:27840                           // 000000004BA8: D86C6CC0 16000005
	ds_read_b32 v23, v5 offset:32480                           // 000000004BB0: D86C7EE0 17000005
	v_mfma_f32_16x16x32_fp8_fp8 v[164:167], a[76:77], v[42:43], v[164:167]// 000000004BB8: D3F300A4 0E92554C
	v_mfma_f32_16x16x32_fp8_fp8 v[168:171], a[78:79], v[42:43], v[168:171]// 000000004BC0: D3F300A8 0EA2554E
	ds_read_b32 v24, v5 offset:18688                           // 000000004BC8: D86C4900 18000005
	ds_read_b32 v25, v5 offset:23328                           // 000000004BD0: D86C5B20 19000005
	ds_read_b32 v26, v5 offset:27968                           // 000000004BD8: D86C6D40 1A000005
	ds_read_b32 v27, v5 offset:32608                           // 000000004BE0: D86C7F60 1B000005
	v_mfma_f32_16x16x32_fp8_fp8 v[172:175], a[80:81], v[42:43], v[172:175]// 000000004BE8: D3F300AC 0EB25550
	v_mfma_f32_16x16x32_fp8_fp8 v[176:179], a[82:83], v[42:43], v[176:179]// 000000004BF0: D3F300B0 0EC25552
	ds_read_b128 a[72:75], v4 offset:18560                     // 000000004BF8: DBFE4880 48000004
	ds_read_b128 a[76:79], v4 offset:18816                     // 000000004C00: DBFE4980 4C000004
	v_mfma_f32_16x16x32_fp8_fp8 v[180:183], a[84:85], v[42:43], v[180:183]// 000000004C08: D3F300B4 0ED25554
	v_mfma_f32_16x16x32_fp8_fp8 v[184:187], a[86:87], v[42:43], v[184:187]// 000000004C10: D3F300B8 0EE25556
	s_waitcnt lgkmcnt(2)                                       // 000000004C18: BF8CC27F
	v_perm_b32 v32, v22, v20, s52                              // 000000004C1C: D1ED0020 00D22916
	v_perm_b32 v33, v22, v20, s53                              // 000000004C24: D1ED0021 00D62916
	v_perm_b32 v34, v23, v21, s52                              // 000000004C2C: D1ED0022 00D22B17
	v_perm_b32 v35, v23, v21, s53                              // 000000004C34: D1ED0023 00D62B17
	v_perm_b32 v28, v34, v32, s54                              // 000000004C3C: D1ED001C 00DA4122
	v_perm_b32 v36, v34, v32, s55                              // 000000004C44: D1ED0024 00DE4122
	v_perm_b32 v30, v35, v33, s54                              // 000000004C4C: D1ED001E 00DA4323
	v_perm_b32 v38, v35, v33, s55                              // 000000004C54: D1ED0026 00DE4323
	v_mfma_f32_16x16x32_fp8_fp8 v[188:191], a[88:89], v[42:43], v[188:191]// 000000004C5C: D3F300BC 0EF25558
	v_mfma_f32_16x16x32_fp8_fp8 v[192:195], a[90:91], v[42:43], v[192:195]// 000000004C64: D3F300C0 0F02555A
	v_perm_b32 v32, v26, v24, s52                              // 000000004C6C: D1ED0020 00D2311A
	v_perm_b32 v33, v26, v24, s53                              // 000000004C74: D1ED0021 00D6311A
	v_perm_b32 v34, v27, v25, s52                              // 000000004C7C: D1ED0022 00D2331B
	v_perm_b32 v35, v27, v25, s53                              // 000000004C84: D1ED0023 00D6331B
	v_perm_b32 v29, v34, v32, s54                              // 000000004C8C: D1ED001D 00DA4122
	v_perm_b32 v37, v34, v32, s55                              // 000000004C94: D1ED0025 00DE4122
	v_perm_b32 v31, v35, v33, s54                              // 000000004C9C: D1ED001F 00DA4323
	v_perm_b32 v39, v35, v33, s55                              // 000000004CA4: D1ED0027 00DE4323
	v_mfma_f32_16x16x32_fp8_fp8 v[196:199], a[92:93], v[42:43], v[196:199]// 000000004CAC: D3F300C4 0F12555C
	v_mfma_f32_16x16x32_fp8_fp8 v[200:203], a[94:95], v[42:43], v[200:203]// 000000004CB4: D3F300C8 0F22555E
	ds_write_b128 v6, v[28:31] offset:37120                    // 000000004CBC: D9BE9100 00001C06
	v_mfma_f32_16x16x32_fp8_fp8 v[204:207], a[96:97], v[42:43], v[204:207]// 000000004CC4: D3F300CC 0F325560
	v_mfma_f32_16x16x32_fp8_fp8 v[208:211], a[98:99], v[42:43], v[208:211]// 000000004CCC: D3F300D0 0F425562
	ds_write_b128 v6, v[36:39] offset:38144                    // 000000004CD4: D9BE9500 00002406
	v_mfma_f32_16x16x32_fp8_fp8 v[212:215], a[100:101], v[42:43], v[212:215]// 000000004CDC: D3F300D4 0F525564
	v_mfma_f32_16x16x32_fp8_fp8 v[216:219], a[102:103], v[42:43], v[216:219]// 000000004CE4: D3F300D8 0F625566
	v_mfma_f32_16x16x32_fp8_fp8 v[220:223], a[104:105], v[42:43], v[220:223]// 000000004CEC: D3F300DC 0F725568
	v_mfma_f32_16x16x32_fp8_fp8 v[224:227], a[106:107], v[42:43], v[224:227]// 000000004CF4: D3F300E0 0F82556A
	ds_read_b32 v20, v5 offset:19584                           // 000000004CFC: D86C4C80 14000005
	ds_read_b32 v21, v5 offset:24224                           // 000000004D04: D86C5EA0 15000005
	ds_read_b32 v22, v5 offset:28864                           // 000000004D0C: D86C70C0 16000005
	ds_read_b32 v23, v5 offset:33504                           // 000000004D14: D86C82E0 17000005
	v_mfma_f32_16x16x32_fp8_fp8 v[228:231], a[108:109], v[42:43], v[228:231]// 000000004D1C: D3F300E4 0F92556C
	v_mfma_f32_16x16x32_fp8_fp8 v[232:235], a[110:111], v[42:43], v[232:235]// 000000004D24: D3F300E8 0FA2556E
	ds_read_b32 v24, v5 offset:19712                           // 000000004D2C: D86C4D00 18000005
	ds_read_b32 v25, v5 offset:24352                           // 000000004D34: D86C5F20 19000005
	ds_read_b32 v26, v5 offset:28992                           // 000000004D3C: D86C7140 1A000005
	ds_read_b32 v27, v5 offset:33632                           // 000000004D44: D86C8360 1B000005
	v_mfma_f32_16x16x32_fp8_fp8 v[236:239], a[112:113], v[42:43], v[236:239]// 000000004D4C: D3F300EC 0FB25570
	v_mfma_f32_16x16x32_fp8_fp8 v[240:243], a[114:115], v[42:43], v[240:243]// 000000004D54: D3F300F0 0FC25572
	ds_read_b128 a[80:83], v4 offset:19072                     // 000000004D5C: DBFE4A80 50000004
	ds_read_b128 a[84:87], v4 offset:19328                     // 000000004D64: DBFE4B80 54000004
	v_mfma_f32_16x16x32_fp8_fp8 v[244:247], a[116:117], v[42:43], v[244:247]// 000000004D6C: D3F300F4 0FD25574
	v_mfma_f32_16x16x32_fp8_fp8 v[248:251], a[118:119], v[42:43], v[248:251]// 000000004D74: D3F300F8 0FE25576
	v_mfma_f32_16x16x32_fp8_fp8 v[252:255], a[120:121], v[42:43], v[252:255]// 000000004D7C: D3F300FC 0FF25578
	v_mfma_f32_16x16x32_fp8_fp8 a[172:175], a[122:123], v[42:43], a[172:175]// 000000004D84: D3F380AC 0EB2557A
	ds_read_b128 a[88:91], v4 offset:19584                     // 000000004D8C: DBFE4C80 58000004
	ds_read_b128 a[92:95], v4 offset:19840                     // 000000004D94: DBFE4D80 5C000004
	v_mfma_f32_16x16x32_fp8_fp8 a[176:179], a[124:125], v[42:43], a[176:179]// 000000004D9C: D3F380B0 0EC2557C
	v_mfma_f32_16x16x32_fp8_fp8 a[180:183], a[126:127], v[42:43], a[180:183]// 000000004DA4: D3F380B4 0ED2557E
	v_mfma_f32_16x16x32_fp8_fp8 a[184:187], a[128:129], v[42:43], a[184:187]// 000000004DAC: D3F380B8 0EE25580
	v_mfma_f32_16x16x32_fp8_fp8 a[188:191], a[130:131], v[42:43], a[188:191]// 000000004DB4: D3F380BC 0EF25582
	ds_read_b128 a[96:99], v4 offset:20096                     // 000000004DBC: DBFE4E80 60000004
	ds_read_b128 a[100:103], v4 offset:20352                   // 000000004DC4: DBFE4F80 64000004
	v_mfma_f32_16x16x32_fp8_fp8 a[192:195], a[132:133], v[42:43], a[192:195]// 000000004DCC: D3F380C0 0F025584
	v_mfma_f32_16x16x32_fp8_fp8 a[196:199], a[134:135], v[42:43], a[196:199]// 000000004DD4: D3F380C4 0F125586
	s_nop 0                                                    // 000000004DDC: BF800000
	s_addk_i32 s70, 0x1                                        // 000000004DE0: B7460001
	s_cmp_lt_i32 s70, s71                                      // 000000004DE4: BF044746
	s_cbranch_scc0 label_0FD6                                  // 000000004DE8: BF84051B
	s_waitcnt lgkmcnt(4)                                       // 000000004DEC: BF8CC47F
	v_mfma_f32_16x16x32_fp8_fp8 v[40:43], a[72:73], a[0:1], 0  // 000000004DF0: D3F30028 1A020148
	ds_read_b128 a[104:107], v4 offset:20608                   // 000000004DF8: DBFE5080 68000004
	ds_read_b128 a[108:111], v4 offset:18688                   // 000000004E00: DBFE4900 6C000004
	v_mfma_f32_16x16x32_fp8_fp8 v[40:43], a[74:75], a[2:3], v[40:43]// 000000004E08: D3F30028 1CA2054A
	buffer_load_dword v11, v8, s[24:27], 0 offen               // 000000004E10: E0501000 80060B08
	v_mfma_f32_16x16x32_fp8_fp8 v[40:43], a[76:77], a[4:5], v[40:43]// 000000004E18: D3F30028 1CA2094C
	v_mfma_f32_16x16x32_fp8_fp8 v[40:43], a[78:79], a[6:7], v[40:43]// 000000004E20: D3F30028 1CA20D4E
	v_mfma_f32_16x16x32_fp8_fp8 v[40:43], a[80:81], a[8:9], v[40:43]// 000000004E28: D3F30028 1CA21150
	ds_read_b128 a[112:115], v4 offset:18944                   // 000000004E30: DBFE4A00 70000004
	ds_read_b128 a[116:119], v4 offset:19200                   // 000000004E38: DBFE4B00 74000004
	v_mfma_f32_16x16x32_fp8_fp8 v[40:43], a[82:83], a[10:11], v[40:43]// 000000004E40: D3F30028 1CA21552
	v_mfma_f32_16x16x32_fp8_fp8 v[40:43], a[84:85], a[12:13], v[40:43]// 000000004E48: D3F30028 1CA21954
	v_mfma_f32_16x16x32_fp8_fp8 v[40:43], a[86:87], a[14:15], v[40:43]// 000000004E50: D3F30028 1CA21D56
	s_waitcnt lgkmcnt(4)                                       // 000000004E58: BF8CC47F
	v_mfma_f32_16x16x32_fp8_fp8 v[40:43], a[88:89], a[16:17], v[40:43]// 000000004E5C: D3F30028 1CA22158
	ds_read_b128 a[120:123], v4 offset:19456                   // 000000004E64: DBFE4C00 78000004
	ds_read_b128 a[124:127], v4 offset:19712                   // 000000004E6C: DBFE4D00 7C000004
	v_mfma_f32_16x16x32_fp8_fp8 v[40:43], a[90:91], a[18:19], v[40:43]// 000000004E74: D3F30028 1CA2255A
	v_mfma_f32_16x16x32_fp8_fp8 v[40:43], a[92:93], a[20:21], v[40:43]// 000000004E7C: D3F30028 1CA2295C
	v_mfma_f32_16x16x32_fp8_fp8 v[40:43], a[94:95], a[22:23], v[40:43]// 000000004E84: D3F30028 1CA22D5E
	v_mfma_f32_16x16x32_fp8_fp8 v[40:43], a[96:97], a[24:25], v[40:43]// 000000004E8C: D3F30028 1CA23160
	ds_read_b128 a[128:131], v4 offset:19968                   // 000000004E94: DBFE4E00 80000004
	ds_read_b128 a[132:135], v4 offset:20224                   // 000000004E9C: DBFE4F00 84000004
	v_mfma_f32_16x16x32_fp8_fp8 v[40:43], a[98:99], a[26:27], v[40:43]// 000000004EA4: D3F30028 1CA23562
	v_mfma_f32_16x16x32_fp8_fp8 v[40:43], a[100:101], a[28:29], v[40:43]// 000000004EAC: D3F30028 1CA23964
	v_mfma_f32_16x16x32_fp8_fp8 v[40:43], a[102:103], a[30:31], v[40:43]// 000000004EB4: D3F30028 1CA23D66
	s_waitcnt lgkmcnt(4)                                       // 000000004EBC: BF8CC47F
	s_barrier                                                  // 000000004EC0: BF8A0000
	v_mfma_f32_16x16x32_fp8_fp8 v[40:43], a[104:105], a[32:33], v[40:43]// 000000004EC4: D3F30028 1CA24168
	ds_read_b128 a[136:139], v4 offset:20480                   // 000000004ECC: DBFE5000 88000004
	ds_read_b128 a[140:143], v4 offset:20736                   // 000000004ED4: DBFE5100 8C000004
	v_mfma_f32_16x16x32_fp8_fp8 v[40:43], a[106:107], a[34:35], v[40:43]// 000000004EDC: D3F30028 1CA2456A
	v_mfma_f32_16x16x32_fp8_fp8 v[44:47], a[108:109], a[0:1], 0// 000000004EE4: D3F3002C 1A02016C
	v_perm_b32 v32, v22, v20, s52                              // 000000004EEC: D1ED0020 00D22916
	v_perm_b32 v33, v22, v20, s53                              // 000000004EF4: D1ED0021 00D62916
	v_perm_b32 v34, v23, v21, s52                              // 000000004EFC: D1ED0022 00D22B17
	v_perm_b32 v35, v23, v21, s53                              // 000000004F04: D1ED0023 00D62B17
	v_perm_b32 v28, v34, v32, s54                              // 000000004F0C: D1ED001C 00DA4122
	v_perm_b32 v36, v34, v32, s55                              // 000000004F14: D1ED0024 00DE4122
	v_perm_b32 v30, v35, v33, s54                              // 000000004F1C: D1ED001E 00DA4323
	v_perm_b32 v38, v35, v33, s55                              // 000000004F24: D1ED0026 00DE4323
	v_mfma_f32_16x16x32_fp8_fp8 v[44:47], a[110:111], a[2:3], v[44:47]// 000000004F2C: D3F3002C 1CB2056E
	buffer_load_dword v18, s[20:23], 0 offen lds               // 000000004F34: E0511000 80050012
	s_add_u32 m0, 0, s37                                       // 000000004F3C: 807C2580
	v_mfma_f32_16x16x32_fp8_fp8 v[44:47], a[112:113], a[4:5], v[44:47]// 000000004F40: D3F3002C 1CB20970
	v_perm_b32 v32, v26, v24, s52                              // 000000004F48: D1ED0020 00D2311A
	v_perm_b32 v33, v26, v24, s53                              // 000000004F50: D1ED0021 00D6311A
	v_perm_b32 v34, v27, v25, s52                              // 000000004F58: D1ED0022 00D2331B
	v_perm_b32 v35, v27, v25, s53                              // 000000004F60: D1ED0023 00D6331B
	v_perm_b32 v29, v34, v32, s54                              // 000000004F68: D1ED001D 00DA4122
	v_perm_b32 v37, v34, v32, s55                              // 000000004F70: D1ED0025 00DE4122
	v_perm_b32 v31, v35, v33, s54                              // 000000004F78: D1ED001F 00DA4323
	v_perm_b32 v39, v35, v33, s55                              // 000000004F80: D1ED0027 00DE4323
	v_mfma_f32_16x16x32_fp8_fp8 v[44:47], a[114:115], a[6:7], v[44:47]// 000000004F88: D3F3002C 1CB20D72
	buffer_load_dword v19, s[20:23], 0 offen lds               // 000000004F90: E0511000 80050013
	s_add_u32 m0, 0xc0, s36                                    // 000000004F98: 807C24FF 000000C0
	v_mfma_f32_16x16x32_fp8_fp8 v[44:47], a[116:117], a[8:9], v[44:47]// 000000004FA0: D3F3002C 1CB21174
	ds_write_b128 v6, v[28:31] offset:45312                    // 000000004FA8: D9BEB100 00001C06
	v_mfma_f32_16x16x32_fp8_fp8 v[44:47], a[118:119], a[10:11], v[44:47]// 000000004FB0: D3F3002C 1CB21576
	buffer_load_dword v18, s[20:23], 0 offen offset:64 lds     // 000000004FB8: E0511040 80050012
	s_add_u32 m0, 0xc0, s37                                    // 000000004FC0: 807C25FF 000000C0
	s_waitcnt lgkmcnt(1)                                       // 000000004FC8: BF8CC17F
	v_mfma_f32_16x16x32_fp8_fp8 v[44:47], a[120:121], a[12:13], v[44:47]// 000000004FCC: D3F3002C 1CB21978
	ds_write_b128 v6, v[36:39] offset:46336                    // 000000004FD4: D9BEB500 00002406
	v_mfma_f32_16x16x32_fp8_fp8 v[44:47], a[122:123], a[14:15], v[44:47]// 000000004FDC: D3F3002C 1CB21D7A
	buffer_load_dword v19, s[20:23], 0 offen offset:64 lds     // 000000004FE4: E0511040 80050013
	s_add_u32 m0, 0x180, s36                                   // 000000004FEC: 807C24FF 00000180
	v_mfma_f32_16x16x32_fp8_fp8 v[44:47], a[124:125], a[16:17], v[44:47]// 000000004FF4: D3F3002C 1CB2217C
	v_mfma_f32_16x16x32_fp8_fp8 v[44:47], a[126:127], a[18:19], v[44:47]// 000000004FFC: D3F3002C 1CB2257E
	buffer_load_dword v18, s[20:23], 0 offen offset:128 lds    // 000000005004: E0511080 80050012
	s_add_u32 m0, 0x180, s37                                   // 00000000500C: 807C25FF 00000180
	v_mfma_f32_16x16x32_fp8_fp8 v[44:47], a[128:129], a[20:21], v[44:47]// 000000005014: D3F3002C 1CB22980
	v_mfma_f32_16x16x32_fp8_fp8 v[44:47], a[130:131], a[22:23], v[44:47]// 00000000501C: D3F3002C 1CB22D82
	buffer_load_dword v19, s[20:23], 0 offen offset:128 lds    // 000000005024: E0511080 80050013
	s_add_u32 m0, 0x240, s36                                   // 00000000502C: 807C24FF 00000240
	v_mfma_f32_16x16x32_fp8_fp8 v[44:47], a[132:133], a[24:25], v[44:47]// 000000005034: D3F3002C 1CB23184
	v_mfma_f32_16x16x32_fp8_fp8 v[44:47], a[134:135], a[26:27], v[44:47]// 00000000503C: D3F3002C 1CB23586
	buffer_load_dword v18, s[20:23], 0 offen offset:192 lds    // 000000005044: E05110C0 80050012
	s_add_u32 m0, 0x240, s37                                   // 00000000504C: 807C25FF 00000240
	v_mfma_f32_16x16x32_fp8_fp8 v[44:47], a[136:137], a[28:29], v[44:47]// 000000005054: D3F3002C 1CB23988
	v_mfma_f32_16x16x32_fp8_fp8 v[44:47], a[138:139], a[30:31], v[44:47]// 00000000505C: D3F3002C 1CB23D8A
	buffer_load_dword v19, s[20:23], 0 offen offset:192 lds    // 000000005064: E05110C0 80050013
	s_add_u32 m0, 0x300, s36                                   // 00000000506C: 807C24FF 00000300
	v_mfma_f32_16x16x32_fp8_fp8 v[44:47], a[140:141], a[32:33], v[44:47]// 000000005074: D3F3002C 1CB2418C
	v_mfma_f32_16x16x32_fp8_fp8 v[44:47], a[142:143], a[34:35], v[44:47]// 00000000507C: D3F3002C 1CB2458E
	buffer_load_dword v18, s[20:23], 0 offen offset:256 lds    // 000000005084: E0511100 80050012
	s_add_u32 m0, 0x300, s37                                   // 00000000508C: 807C25FF 00000300
	v_add_u32_e32 v8, s73, v8                                  // 000000005094: 68101049
	s_cmp_le_i32 s83, s82                                      // 000000005098: BF055253
	s_cbranch_scc1 label_0BA2                                  // 00000000509C: BF85003A
	v_mov_b32_e32 v25, 0xff800000                              // 0000000050A0: 7E3202FF FF800000
	v_mov_b32_e32 v24, s82                                     // 0000000050A8: 7E300252
	s_sub_u32 s56, s83, 31                                     // 0000000050AC: 80B89F53
	v_lshrrev_b32_e32 v20, 4, v0                               // 0000000050B0: 20280084
	v_mul_i32_i24_e32 v20, 4, v20                              // 0000000050B4: 0C282884
	v_add_u32_e32 v20, s56, v20                                // 0000000050B8: 68282838
	v_add_u32_e32 v21, 1, v20                                  // 0000000050BC: 682A2881
	v_add_u32_e32 v22, 2, v20                                  // 0000000050C0: 682C2882
	v_add_u32_e32 v23, 3, v20                                  // 0000000050C4: 682E2883
	v_cmp_le_u32_e64 s[38:39], v20, v24                        // 0000000050C8: D0CB0026 00023114
	v_add_u32_e32 v20, 16, v20                                 // 0000000050D0: 68282890
	s_nop 0                                                    // 0000000050D4: BF800000
	v_cndmask_b32_e64 v40, v25, v40, s[38:39]                  // 0000000050D8: D1000028 009A5119
	v_cmp_le_u32_e64 s[38:39], v21, v24                        // 0000000050E0: D0CB0026 00023115
	v_add_u32_e32 v21, 16, v21                                 // 0000000050E8: 682A2A90
	s_nop 0                                                    // 0000000050EC: BF800000
	v_cndmask_b32_e64 v41, v25, v41, s[38:39]                  // 0000000050F0: D1000029 009A5319
	v_cmp_le_u32_e64 s[38:39], v22, v24                        // 0000000050F8: D0CB0026 00023116
	v_add_u32_e32 v22, 16, v22                                 // 000000005100: 682C2C90
	s_nop 0                                                    // 000000005104: BF800000
	v_cndmask_b32_e64 v42, v25, v42, s[38:39]                  // 000000005108: D100002A 009A5519
	v_cmp_le_u32_e64 s[38:39], v23, v24                        // 000000005110: D0CB0026 00023117
	v_add_u32_e32 v23, 16, v23                                 // 000000005118: 682E2E90
	s_nop 0                                                    // 00000000511C: BF800000
	v_cndmask_b32_e64 v43, v25, v43, s[38:39]                  // 000000005120: D100002B 009A5719
	v_cmp_le_u32_e64 s[38:39], v20, v24                        // 000000005128: D0CB0026 00023114
	v_add_u32_e32 v20, 16, v20                                 // 000000005130: 68282890
	s_nop 0                                                    // 000000005134: BF800000
	v_cndmask_b32_e64 v44, v25, v44, s[38:39]                  // 000000005138: D100002C 009A5919
	v_cmp_le_u32_e64 s[38:39], v21, v24                        // 000000005140: D0CB0026 00023115
	v_add_u32_e32 v21, 16, v21                                 // 000000005148: 682A2A90
	s_nop 0                                                    // 00000000514C: BF800000
	v_cndmask_b32_e64 v45, v25, v45, s[38:39]                  // 000000005150: D100002D 009A5B19
	v_cmp_le_u32_e64 s[38:39], v22, v24                        // 000000005158: D0CB0026 00023116
	v_add_u32_e32 v22, 16, v22                                 // 000000005160: 682C2C90
	s_nop 0                                                    // 000000005164: BF800000
	v_cndmask_b32_e64 v46, v25, v46, s[38:39]                  // 000000005168: D100002E 009A5D19
	v_cmp_le_u32_e64 s[38:39], v23, v24                        // 000000005170: D0CB0026 00023117
	v_add_u32_e32 v23, 16, v23                                 // 000000005178: 682E2E90
	s_nop 0                                                    // 00000000517C: BF800000
	v_cndmask_b32_e64 v47, v25, v47, s[38:39]                  // 000000005180: D100002F 009A5F19

0000000000005188 <label_0BA2>:
	s_waitcnt lgkmcnt(0)                                       // 000000005188: BF8CC07F
	s_barrier                                                  // 00000000518C: BF8A0000
	v_mfma_f32_16x16x32_fp8_fp8 v[48:51], a[72:73], a[36:37], 0// 000000005190: D3F30030 1A024948
	v_mfma_f32_16x16x32_fp8_fp8 v[48:51], a[74:75], a[38:39], v[48:51]// 000000005198: D3F30030 1CC24D4A
	v_max3_f32 v24, v40, v41, v40                              // 0000000051A0: D1D30018 04A25328
	v_max3_f32 v24, v42, v43, v24                              // 0000000051A8: D1D30018 0462572A
	v_max3_f32 v24, v44, v45, v24                              // 0000000051B0: D1D30018 04625B2C
	v_max3_f32 v24, v46, v47, v24                              // 0000000051B8: D1D30018 04625F2E
	ds_write_b32 v3, v24 offset:53504                          // 0000000051C0: D81AD100 00001803
	v_mfma_f32_16x16x32_fp8_fp8 v[48:51], a[76:77], a[40:41], v[48:51]// 0000000051C8: D3F30030 1CC2514C
	v_mfma_f32_16x16x32_fp8_fp8 v[48:51], a[78:79], a[42:43], v[48:51]// 0000000051D0: D3F30030 1CC2554E
	buffer_load_dword v19, s[20:23], 0 offen offset:256 lds    // 0000000051D8: E0511100 80050013
	s_add_u32 m0, 0x3c0, s36                                   // 0000000051E0: 807C24FF 000003C0
	v_mfma_f32_16x16x32_fp8_fp8 v[48:51], a[80:81], a[44:45], v[48:51]// 0000000051E8: D3F30030 1CC25950
	v_mfma_f32_16x16x32_fp8_fp8 v[48:51], a[82:83], a[46:47], v[48:51]// 0000000051F0: D3F30030 1CC25D52
	buffer_load_dword v18, s[20:23], 0 offen offset:320 lds    // 0000000051F8: E0511140 80050012
	s_add_u32 m0, 0x3c0, s37                                   // 000000005200: 807C25FF 000003C0
	v_mfma_f32_16x16x32_fp8_fp8 v[48:51], a[84:85], a[48:49], v[48:51]// 000000005208: D3F30030 1CC26154
	s_waitcnt lgkmcnt(0)                                       // 000000005210: BF8CC07F
	ds_read_b32 v20, v2 offset:53504                           // 000000005214: D86CD100 14000002
	ds_read_b32 v21, v2 offset:53568                           // 00000000521C: D86CD140 15000002
	v_mfma_f32_16x16x32_fp8_fp8 v[48:51], a[86:87], a[50:51], v[48:51]// 000000005224: D3F30030 1CC26556
	ds_read_b32 v22, v2 offset:53632                           // 00000000522C: D86CD180 16000002
	ds_read_b32 v23, v2 offset:53696                           // 000000005234: D86CD1C0 17000002
	v_mfma_f32_16x16x32_fp8_fp8 v[48:51], a[88:89], a[52:53], v[48:51]// 00000000523C: D3F30030 1CC26958
	v_mfma_f32_16x16x32_fp8_fp8 v[48:51], a[90:91], a[54:55], v[48:51]// 000000005244: D3F30030 1CC26D5A
	buffer_load_dword v19, s[20:23], 0 offen offset:320 lds    // 00000000524C: E0511140 80050013
	s_add_u32 m0, 0x480, s36                                   // 000000005254: 807C24FF 00000480
	v_mfma_f32_16x16x32_fp8_fp8 v[48:51], a[92:93], a[56:57], v[48:51]// 00000000525C: D3F30030 1CC2715C
	v_mfma_f32_16x16x32_fp8_fp8 v[48:51], a[94:95], a[58:59], v[48:51]// 000000005264: D3F30030 1CC2755E
	buffer_load_dword v18, s[20:23], 0 offen offset:384 lds    // 00000000526C: E0511180 80050012
	s_add_u32 m0, 0x480, s37                                   // 000000005274: 807C25FF 00000480
	v_mfma_f32_16x16x32_fp8_fp8 v[48:51], a[96:97], a[60:61], v[48:51]// 00000000527C: D3F30030 1CC27960
	v_mfma_f32_16x16x32_fp8_fp8 v[48:51], a[98:99], a[62:63], v[48:51]// 000000005284: D3F30030 1CC27D62
	buffer_load_dword v19, s[20:23], 0 offen offset:384 lds    // 00000000528C: E0511180 80050013
	s_add_u32 m0, 0x540, s36                                   // 000000005294: 807C24FF 00000540
	v_mfma_f32_16x16x32_fp8_fp8 v[48:51], a[100:101], a[64:65], v[48:51]// 00000000529C: D3F30030 1CC28164
	s_waitcnt lgkmcnt(0)                                       // 0000000052A4: BF8CC07F
	v_max3_f32 v24, v20, v21, v24                              // 0000000052A8: D1D30018 04622B14
	v_max3_f32 v24, v22, v23, v24                              // 0000000052B0: D1D30018 04622F16
	v_mfma_f32_16x16x32_fp8_fp8 v[48:51], a[102:103], a[66:67], v[48:51]// 0000000052B8: D3F30030 1CC28566
	v_mfma_f32_16x16x32_fp8_fp8 v[48:51], a[104:105], a[68:69], v[48:51]// 0000000052C0: D3F30030 1CC28968
	v_mfma_f32_16x16x32_fp8_fp8 v[48:51], a[106:107], a[70:71], v[48:51]// 0000000052C8: D3F30030 1CC28D6A
	buffer_load_dword v18, s[20:23], 0 offen offset:448 lds    // 0000000052D0: E05111C0 80050012
	s_add_u32 m0, 0x540, s37                                   // 0000000052D8: 807C25FF 00000540
	v_mfma_f32_16x16x32_fp8_fp8 v[52:55], a[108:109], a[36:37], 0// 0000000052E0: D3F30034 1A02496C
	v_mfma_f32_16x16x32_fp8_fp8 v[52:55], a[110:111], a[38:39], v[52:55]// 0000000052E8: D3F30034 1CD24D6E
	buffer_load_dword v19, s[20:23], 0 offen offset:448 lds    // 0000000052F0: E05111C0 80050013
	s_add_u32 m0, 0x600, s36                                   // 0000000052F8: 807C24FF 00000600
	v_mfma_f32_16x16x32_fp8_fp8 v[52:55], a[112:113], a[40:41], v[52:55]// 000000005300: D3F30034 1CD25170
	ds_read_b128 a[72:75], v7 offset:37120                     // 000000005308: DBFE9100 48000007
	ds_read_b128 a[76:79], v7 offset:38144                     // 000000005310: DBFE9500 4C000007
	v_mfma_f32_16x16x32_fp8_fp8 v[52:55], a[114:115], a[42:43], v[52:55]// 000000005318: D3F30034 1CD25572
	buffer_load_dword v18, s[20:23], 0 offen offset:512 lds    // 000000005320: E0511200 80050012
	s_add_u32 m0, 0x600, s37                                   // 000000005328: 807C25FF 00000600
	v_mfma_f32_16x16x32_fp8_fp8 v[52:55], a[116:117], a[44:45], v[52:55]// 000000005330: D3F30034 1CD25974
	v_mfma_f32_16x16x32_fp8_fp8 v[52:55], a[118:119], a[46:47], v[52:55]// 000000005338: D3F30034 1CD25D76
	v_mfma_f32_16x16x32_fp8_fp8 v[52:55], a[120:121], a[48:49], v[52:55]// 000000005340: D3F30034 1CD26178
	ds_read_b128 a[80:83], v7 offset:39168                     // 000000005348: DBFE9900 50000007
	ds_read_b128 a[84:87], v7 offset:40192                     // 000000005350: DBFE9D00 54000007
	v_mfma_f32_16x16x32_fp8_fp8 v[52:55], a[122:123], a[50:51], v[52:55]// 000000005358: D3F30034 1CD2657A
	buffer_load_dword v19, s[20:23], 0 offen offset:512 lds    // 000000005360: E0511200 80050013
	s_add_u32 m0, 0x6c0, s36                                   // 000000005368: 807C24FF 000006C0
	v_mfma_f32_16x16x32_fp8_fp8 v[52:55], a[124:125], a[52:53], v[52:55]// 000000005370: D3F30034 1CD2697C
	v_mfma_f32_16x16x32_fp8_fp8 v[52:55], a[126:127], a[54:55], v[52:55]// 000000005378: D3F30034 1CD26D7E
	v_mfma_f32_16x16x32_fp8_fp8 v[52:55], a[128:129], a[56:57], v[52:55]// 000000005380: D3F30034 1CD27180
	ds_read_b128 a[88:91], v7 offset:41216                     // 000000005388: DBFEA100 58000007
	ds_read_b128 a[92:95], v7 offset:42240                     // 000000005390: DBFEA500 5C000007
	v_mfma_f32_16x16x32_fp8_fp8 v[52:55], a[130:131], a[58:59], v[52:55]// 000000005398: D3F30034 1CD27582
	v_mfma_f32_16x16x32_fp8_fp8 v[52:55], a[132:133], a[60:61], v[52:55]// 0000000053A0: D3F30034 1CD27984
	v_mfma_f32_16x16x32_fp8_fp8 v[52:55], a[134:135], a[62:63], v[52:55]// 0000000053A8: D3F30034 1CD27D86
	v_mfma_f32_16x16x32_fp8_fp8 v[52:55], a[136:137], a[64:65], v[52:55]// 0000000053B0: D3F30034 1CD28188
	ds_read_b128 a[96:99], v7 offset:43264                     // 0000000053B8: DBFEA900 60000007
	ds_read_b128 a[100:103], v7 offset:44288                   // 0000000053C0: DBFEAD00 64000007
	v_mfma_f32_16x16x32_fp8_fp8 v[52:55], a[138:139], a[66:67], v[52:55]// 0000000053C8: D3F30034 1CD2858A
	v_mfma_f32_16x16x32_fp8_fp8 v[52:55], a[140:141], a[68:69], v[52:55]// 0000000053D0: D3F30034 1CD2898C
	v_mfma_f32_16x16x32_fp8_fp8 v[52:55], a[142:143], a[70:71], v[52:55]// 0000000053D8: D3F30034 1CD28D8E
	v_mov_b32_e32 v25, 0xff7fffff                              // 0000000053E0: 7E3202FF FF7FFFFF
	v_cmp_eq_u32_e64 s[38:39], v25, v12                        // 0000000053E8: D0CA0026 00021919
	v_max_f32_e32 v20, v24, v12                                // 0000000053F0: 16281918
	v_sub_f32_e32 v16, v12, v20                                // 0000000053F4: 0420290C
	v_cndmask_b32_e64 v16, v16, 0, s[38:39]                    // 0000000053F8: D1000010 00990110
	v_mov_b32_e32 v12, v20                                     // 000000005400: 7E180314
	v_mul_f32_e32 v21, s5, v20                                 // 000000005404: 0A2A2805
	v_mul_f32_e32 v16, s5, v16                                 // 000000005408: 0A202005
	v_exp_f32_e32 v16, v16                                     // 00000000540C: 7E204110
	v_fma_f32 v40, v40, s5, -v21                               // 000000005410: D1CB0028 84540B28
	v_fma_f32 v41, v41, s5, -v21                               // 000000005418: D1CB0029 84540B29
	v_fma_f32 v42, v42, s5, -v21                               // 000000005420: D1CB002A 84540B2A
	v_fma_f32 v43, v43, s5, -v21                               // 000000005428: D1CB002B 84540B2B
	v_fma_f32 v44, v44, s5, -v21                               // 000000005430: D1CB002C 84540B2C
	v_fma_f32 v45, v45, s5, -v21                               // 000000005438: D1CB002D 84540B2D
	v_fma_f32 v46, v46, s5, -v21                               // 000000005440: D1CB002E 84540B2E
	v_fma_f32 v47, v47, s5, -v21                               // 000000005448: D1CB002F 84540B2F
	v_exp_f32_e32 v40, v40                                     // 000000005450: 7E504128
	v_exp_f32_e32 v41, v41                                     // 000000005454: 7E524129
	v_exp_f32_e32 v42, v42                                     // 000000005458: 7E54412A
	v_exp_f32_e32 v43, v43                                     // 00000000545C: 7E56412B
	v_exp_f32_e32 v44, v44                                     // 000000005460: 7E58412C
	v_exp_f32_e32 v45, v45                                     // 000000005464: 7E5A412D
	v_exp_f32_e32 v46, v46                                     // 000000005468: 7E5C412E
	v_exp_f32_e32 v47, v47                                     // 00000000546C: 7E5E412F
	v_mul_f32_e32 v14, v16, v14                                // 000000005470: 0A1C1D10
	v_mov_b32_e32 v22, v40                                     // 000000005474: 7E2C0328
	v_add_f32_e32 v22, v41, v22                                // 000000005478: 022C2D29
	v_add_f32_e32 v22, v42, v22                                // 00000000547C: 022C2D2A
	v_add_f32_e32 v22, v43, v22                                // 000000005480: 022C2D2B
	v_add_f32_e32 v22, v44, v22                                // 000000005484: 022C2D2C
	v_add_f32_e32 v22, v45, v22                                // 000000005488: 022C2D2D
	v_add_f32_e32 v22, v46, v22                                // 00000000548C: 022C2D2E
	v_add_f32_e32 v22, v47, v22                                // 000000005490: 022C2D2F
	v_add_f32_e32 v14, v22, v14                                // 000000005494: 021C1D16
	v_cvt_pk_fp8_f32 v40, v40, v41                             // 000000005498: D2A20028 00025328
	v_cvt_pk_fp8_f32 v40, v42, v43 op_sel:[0,0,1]              // 0000000054A0: D2A24028 0002572A
	v_cvt_pk_fp8_f32 v41, v44, v45                             // 0000000054A8: D2A20029 00025B2C
	v_cvt_pk_fp8_f32 v41, v46, v47 op_sel:[0,0,1]              // 0000000054B0: D2A24029 00025F2E
	s_nop 0                                                    // 0000000054B8: BF800000
	s_cmp_le_i32 s83, s82                                      // 0000000054BC: BF055253
	s_cbranch_scc1 label_0CAB                                  // 0000000054C0: BF85003A
	v_mov_b32_e32 v25, 0xff800000                              // 0000000054C4: 7E3202FF FF800000
	v_mov_b32_e32 v24, s82                                     // 0000000054CC: 7E300252
	s_sub_u32 s56, s83, 31                                     // 0000000054D0: 80B89F53
	v_lshrrev_b32_e32 v20, 4, v0                               // 0000000054D4: 20280084
	v_mul_i32_i24_e32 v20, 4, v20                              // 0000000054D8: 0C282884
	v_add_u32_e32 v20, s56, v20                                // 0000000054DC: 68282838
	v_add_u32_e32 v21, 1, v20                                  // 0000000054E0: 682A2881
	v_add_u32_e32 v22, 2, v20                                  // 0000000054E4: 682C2882
	v_add_u32_e32 v23, 3, v20                                  // 0000000054E8: 682E2883
	v_cmp_le_u32_e64 s[38:39], v20, v24                        // 0000000054EC: D0CB0026 00023114
	v_add_u32_e32 v20, 16, v20                                 // 0000000054F4: 68282890
	s_nop 0                                                    // 0000000054F8: BF800000
	v_cndmask_b32_e64 v48, v25, v48, s[38:39]                  // 0000000054FC: D1000030 009A6119
	v_cmp_le_u32_e64 s[38:39], v21, v24                        // 000000005504: D0CB0026 00023115
	v_add_u32_e32 v21, 16, v21                                 // 00000000550C: 682A2A90
	s_nop 0                                                    // 000000005510: BF800000
	v_cndmask_b32_e64 v49, v25, v49, s[38:39]                  // 000000005514: D1000031 009A6319
	v_cmp_le_u32_e64 s[38:39], v22, v24                        // 00000000551C: D0CB0026 00023116
	v_add_u32_e32 v22, 16, v22                                 // 000000005524: 682C2C90
	s_nop 0                                                    // 000000005528: BF800000
	v_cndmask_b32_e64 v50, v25, v50, s[38:39]                  // 00000000552C: D1000032 009A6519
	v_cmp_le_u32_e64 s[38:39], v23, v24                        // 000000005534: D0CB0026 00023117
	v_add_u32_e32 v23, 16, v23                                 // 00000000553C: 682E2E90
	s_nop 0                                                    // 000000005540: BF800000
	v_cndmask_b32_e64 v51, v25, v51, s[38:39]                  // 000000005544: D1000033 009A6719
	v_cmp_le_u32_e64 s[38:39], v20, v24                        // 00000000554C: D0CB0026 00023114
	v_add_u32_e32 v20, 16, v20                                 // 000000005554: 68282890
	s_nop 0                                                    // 000000005558: BF800000
	v_cndmask_b32_e64 v52, v25, v52, s[38:39]                  // 00000000555C: D1000034 009A6919
	v_cmp_le_u32_e64 s[38:39], v21, v24                        // 000000005564: D0CB0026 00023115
	v_add_u32_e32 v21, 16, v21                                 // 00000000556C: 682A2A90
	s_nop 0                                                    // 000000005570: BF800000
	v_cndmask_b32_e64 v53, v25, v53, s[38:39]                  // 000000005574: D1000035 009A6B19
	v_cmp_le_u32_e64 s[38:39], v22, v24                        // 00000000557C: D0CB0026 00023116
	v_add_u32_e32 v22, 16, v22                                 // 000000005584: 682C2C90
	s_nop 0                                                    // 000000005588: BF800000
	v_cndmask_b32_e64 v54, v25, v54, s[38:39]                  // 00000000558C: D1000036 009A6D19
	v_cmp_le_u32_e64 s[38:39], v23, v24                        // 000000005594: D0CB0026 00023117
	v_add_u32_e32 v23, 16, v23                                 // 00000000559C: 682E2E90
	s_nop 0                                                    // 0000000055A0: BF800000
	v_cndmask_b32_e64 v55, v25, v55, s[38:39]                  // 0000000055A4: D1000037 009A6F19

00000000000055ac <label_0CAB>:
	s_add_u32 s83, s84, s83                                    // 0000000055AC: 80535354
	s_nop 0                                                    // 0000000055B0: BF800000
	v_mul_u32_u24_dpp v18, v10, v9 row_newbcast:0 row_mask:0xf bank_mask:0xf// 0000000055B4: 102412FA FF01500A
	v_mul_u32_u24_dpp v19, v10, v9 row_newbcast:8 row_mask:0xf bank_mask:0xf// 0000000055BC: 102612FA FF01580A
	v_add_u32_e32 v18, v18, v1                                 // 0000000055C4: 68240312
	v_add_u32_e32 v19, v19, v1                                 // 0000000055C8: 68260313
	s_mov_b32 m0, s34                                          // 0000000055CC: BEFC0022
	v_mov_b32_e32 v22, v16                                     // 0000000055D0: 7E2C0310
	v_mov_b32_e32 v23, v16                                     // 0000000055D4: 7E2E0310
	v_pk_mul_f32 v[56:57], v[22:23], v[56:57]                  // 0000000055D8: D3B14038 18027116
	v_pk_mul_f32 v[58:59], v[22:23], v[58:59]                  // 0000000055E0: D3B1403A 18027516
	v_pk_mul_f32 v[60:61], v[22:23], v[60:61]                  // 0000000055E8: D3B1403C 18027916
	v_pk_mul_f32 v[62:63], v[22:23], v[62:63]                  // 0000000055F0: D3B1403E 18027D16
	v_pk_mul_f32 v[64:65], v[22:23], v[64:65]                  // 0000000055F8: D3B14040 18028116
	v_pk_mul_f32 v[66:67], v[22:23], v[66:67]                  // 000000005600: D3B14042 18028516
	v_pk_mul_f32 v[68:69], v[22:23], v[68:69]                  // 000000005608: D3B14044 18028916
	v_pk_mul_f32 v[70:71], v[22:23], v[70:71]                  // 000000005610: D3B14046 18028D16
	v_pk_mul_f32 v[72:73], v[22:23], v[72:73]                  // 000000005618: D3B14048 18029116
	v_pk_mul_f32 v[74:75], v[22:23], v[74:75]                  // 000000005620: D3B1404A 18029516
	v_pk_mul_f32 v[76:77], v[22:23], v[76:77]                  // 000000005628: D3B1404C 18029916
	v_pk_mul_f32 v[78:79], v[22:23], v[78:79]                  // 000000005630: D3B1404E 18029D16
	v_pk_mul_f32 v[80:81], v[22:23], v[80:81]                  // 000000005638: D3B14050 1802A116
	v_pk_mul_f32 v[82:83], v[22:23], v[82:83]                  // 000000005640: D3B14052 1802A516
	v_pk_mul_f32 v[84:85], v[22:23], v[84:85]                  // 000000005648: D3B14054 1802A916
	v_pk_mul_f32 v[86:87], v[22:23], v[86:87]                  // 000000005650: D3B14056 1802AD16
	v_pk_mul_f32 v[88:89], v[22:23], v[88:89]                  // 000000005658: D3B14058 1802B116
	v_pk_mul_f32 v[90:91], v[22:23], v[90:91]                  // 000000005660: D3B1405A 1802B516
	v_pk_mul_f32 v[92:93], v[22:23], v[92:93]                  // 000000005668: D3B1405C 1802B916
	v_pk_mul_f32 v[94:95], v[22:23], v[94:95]                  // 000000005670: D3B1405E 1802BD16
	v_pk_mul_f32 v[96:97], v[22:23], v[96:97]                  // 000000005678: D3B14060 1802C116
	v_pk_mul_f32 v[98:99], v[22:23], v[98:99]                  // 000000005680: D3B14062 1802C516
	v_pk_mul_f32 v[100:101], v[22:23], v[100:101]              // 000000005688: D3B14064 1802C916
	v_pk_mul_f32 v[102:103], v[22:23], v[102:103]              // 000000005690: D3B14066 1802CD16
	v_pk_mul_f32 v[104:105], v[22:23], v[104:105]              // 000000005698: D3B14068 1802D116
	v_pk_mul_f32 v[106:107], v[22:23], v[106:107]              // 0000000056A0: D3B1406A 1802D516
	v_pk_mul_f32 v[108:109], v[22:23], v[108:109]              // 0000000056A8: D3B1406C 1802D916
	v_pk_mul_f32 v[110:111], v[22:23], v[110:111]              // 0000000056B0: D3B1406E 1802DD16
	v_pk_mul_f32 v[112:113], v[22:23], v[112:113]              // 0000000056B8: D3B14070 1802E116
	v_pk_mul_f32 v[114:115], v[22:23], v[114:115]              // 0000000056C0: D3B14072 1802E516
	v_pk_mul_f32 v[116:117], v[22:23], v[116:117]              // 0000000056C8: D3B14074 1802E916
	v_pk_mul_f32 v[118:119], v[22:23], v[118:119]              // 0000000056D0: D3B14076 1802ED16
	v_pk_mul_f32 v[120:121], v[22:23], v[120:121]              // 0000000056D8: D3B14078 1802F116
	v_pk_mul_f32 v[122:123], v[22:23], v[122:123]              // 0000000056E0: D3B1407A 1802F516
	v_pk_mul_f32 v[124:125], v[22:23], v[124:125]              // 0000000056E8: D3B1407C 1802F916
	v_pk_mul_f32 v[126:127], v[22:23], v[126:127]              // 0000000056F0: D3B1407E 1802FD16
	v_pk_mul_f32 v[128:129], v[22:23], v[128:129]              // 0000000056F8: D3B14080 18030116
	v_pk_mul_f32 v[130:131], v[22:23], v[130:131]              // 000000005700: D3B14082 18030516
	v_pk_mul_f32 v[132:133], v[22:23], v[132:133]              // 000000005708: D3B14084 18030916
	v_pk_mul_f32 v[134:135], v[22:23], v[134:135]              // 000000005710: D3B14086 18030D16
	v_pk_mul_f32 v[136:137], v[22:23], v[136:137]              // 000000005718: D3B14088 18031116
	v_pk_mul_f32 v[138:139], v[22:23], v[138:139]              // 000000005720: D3B1408A 18031516
	v_pk_mul_f32 v[140:141], v[22:23], v[140:141]              // 000000005728: D3B1408C 18031916
	v_pk_mul_f32 v[142:143], v[22:23], v[142:143]              // 000000005730: D3B1408E 18031D16
	v_pk_mul_f32 v[144:145], v[22:23], v[144:145]              // 000000005738: D3B14090 18032116
	v_pk_mul_f32 v[146:147], v[22:23], v[146:147]              // 000000005740: D3B14092 18032516
	v_pk_mul_f32 v[148:149], v[22:23], v[148:149]              // 000000005748: D3B14094 18032916
	v_pk_mul_f32 v[150:151], v[22:23], v[150:151]              // 000000005750: D3B14096 18032D16
	v_pk_mul_f32 v[152:153], v[22:23], v[152:153]              // 000000005758: D3B14098 18033116
	v_pk_mul_f32 v[154:155], v[22:23], v[154:155]              // 000000005760: D3B1409A 18033516
	v_accvgpr_read_b32 v20, a144                               // 000000005768: D3D84014 18000190
	v_accvgpr_read_b32 v21, a145                               // 000000005770: D3D84015 18000191
	v_pk_mul_f32 v[20:21], v[22:23], v[20:21]                  // 000000005778: D3B14014 18022916
	v_accvgpr_write_b32 a144, v20                              // 000000005780: D3D94090 18000114
	v_accvgpr_write_b32 a145, v21                              // 000000005788: D3D94091 18000115
	v_accvgpr_read_b32 v20, a146                               // 000000005790: D3D84014 18000192
	v_accvgpr_read_b32 v21, a147                               // 000000005798: D3D84015 18000193
	v_pk_mul_f32 v[20:21], v[22:23], v[20:21]                  // 0000000057A0: D3B14014 18022916
	v_accvgpr_write_b32 a146, v20                              // 0000000057A8: D3D94092 18000114
	v_accvgpr_write_b32 a147, v21                              // 0000000057B0: D3D94093 18000115
	v_accvgpr_read_b32 v20, a148                               // 0000000057B8: D3D84014 18000194
	v_accvgpr_read_b32 v21, a149                               // 0000000057C0: D3D84015 18000195
	v_pk_mul_f32 v[20:21], v[22:23], v[20:21]                  // 0000000057C8: D3B14014 18022916
	v_accvgpr_write_b32 a148, v20                              // 0000000057D0: D3D94094 18000114
	v_accvgpr_write_b32 a149, v21                              // 0000000057D8: D3D94095 18000115
	v_accvgpr_read_b32 v20, a150                               // 0000000057E0: D3D84014 18000196
	v_accvgpr_read_b32 v21, a151                               // 0000000057E8: D3D84015 18000197
	v_pk_mul_f32 v[20:21], v[22:23], v[20:21]                  // 0000000057F0: D3B14014 18022916
	v_accvgpr_write_b32 a150, v20                              // 0000000057F8: D3D94096 18000114
	v_accvgpr_write_b32 a151, v21                              // 000000005800: D3D94097 18000115
	v_accvgpr_read_b32 v20, a152                               // 000000005808: D3D84014 18000198
	v_accvgpr_read_b32 v21, a153                               // 000000005810: D3D84015 18000199
	v_pk_mul_f32 v[20:21], v[22:23], v[20:21]                  // 000000005818: D3B14014 18022916
	v_accvgpr_write_b32 a152, v20                              // 000000005820: D3D94098 18000114
	v_accvgpr_write_b32 a153, v21                              // 000000005828: D3D94099 18000115
	v_accvgpr_read_b32 v20, a154                               // 000000005830: D3D84014 1800019A
	v_accvgpr_read_b32 v21, a155                               // 000000005838: D3D84015 1800019B
	v_pk_mul_f32 v[20:21], v[22:23], v[20:21]                  // 000000005840: D3B14014 18022916
	v_accvgpr_write_b32 a154, v20                              // 000000005848: D3D9409A 18000114
	v_accvgpr_write_b32 a155, v21                              // 000000005850: D3D9409B 18000115
	v_accvgpr_read_b32 v20, a156                               // 000000005858: D3D84014 1800019C
	v_accvgpr_read_b32 v21, a157                               // 000000005860: D3D84015 1800019D
	v_pk_mul_f32 v[20:21], v[22:23], v[20:21]                  // 000000005868: D3B14014 18022916
	v_accvgpr_write_b32 a156, v20                              // 000000005870: D3D9409C 18000114
	v_accvgpr_write_b32 a157, v21                              // 000000005878: D3D9409D 18000115
	v_accvgpr_read_b32 v20, a158                               // 000000005880: D3D84014 1800019E
	v_accvgpr_read_b32 v21, a159                               // 000000005888: D3D84015 1800019F
	v_pk_mul_f32 v[20:21], v[22:23], v[20:21]                  // 000000005890: D3B14014 18022916
	v_accvgpr_write_b32 a158, v20                              // 000000005898: D3D9409E 18000114
	v_accvgpr_write_b32 a159, v21                              // 0000000058A0: D3D9409F 18000115
	v_accvgpr_read_b32 v20, a160                               // 0000000058A8: D3D84014 180001A0
	v_accvgpr_read_b32 v21, a161                               // 0000000058B0: D3D84015 180001A1
	v_pk_mul_f32 v[20:21], v[22:23], v[20:21]                  // 0000000058B8: D3B14014 18022916
	v_accvgpr_write_b32 a160, v20                              // 0000000058C0: D3D940A0 18000114
	v_accvgpr_write_b32 a161, v21                              // 0000000058C8: D3D940A1 18000115
	v_accvgpr_read_b32 v20, a162                               // 0000000058D0: D3D84014 180001A2
	v_accvgpr_read_b32 v21, a163                               // 0000000058D8: D3D84015 180001A3
	v_pk_mul_f32 v[20:21], v[22:23], v[20:21]                  // 0000000058E0: D3B14014 18022916
	v_accvgpr_write_b32 a162, v20                              // 0000000058E8: D3D940A2 18000114
	v_accvgpr_write_b32 a163, v21                              // 0000000058F0: D3D940A3 18000115
	v_accvgpr_read_b32 v20, a164                               // 0000000058F8: D3D84014 180001A4
	v_accvgpr_read_b32 v21, a165                               // 000000005900: D3D84015 180001A5
	v_pk_mul_f32 v[20:21], v[22:23], v[20:21]                  // 000000005908: D3B14014 18022916
	v_accvgpr_write_b32 a164, v20                              // 000000005910: D3D940A4 18000114
	v_accvgpr_write_b32 a165, v21                              // 000000005918: D3D940A5 18000115
	v_accvgpr_read_b32 v20, a166                               // 000000005920: D3D84014 180001A6
	v_accvgpr_read_b32 v21, a167                               // 000000005928: D3D84015 180001A7
	v_pk_mul_f32 v[20:21], v[22:23], v[20:21]                  // 000000005930: D3B14014 18022916
	v_accvgpr_write_b32 a166, v20                              // 000000005938: D3D940A6 18000114
	v_accvgpr_write_b32 a167, v21                              // 000000005940: D3D940A7 18000115
	v_accvgpr_read_b32 v20, a168                               // 000000005948: D3D84014 180001A8
	v_accvgpr_read_b32 v21, a169                               // 000000005950: D3D84015 180001A9
	v_pk_mul_f32 v[20:21], v[22:23], v[20:21]                  // 000000005958: D3B14014 18022916
	v_accvgpr_write_b32 a168, v20                              // 000000005960: D3D940A8 18000114
	v_accvgpr_write_b32 a169, v21                              // 000000005968: D3D940A9 18000115
	v_accvgpr_read_b32 v20, a170                               // 000000005970: D3D84014 180001AA
	v_accvgpr_read_b32 v21, a171                               // 000000005978: D3D84015 180001AB
	v_pk_mul_f32 v[20:21], v[22:23], v[20:21]                  // 000000005980: D3B14014 18022916
	v_accvgpr_write_b32 a170, v20                              // 000000005988: D3D940AA 18000114
	v_accvgpr_write_b32 a171, v21                              // 000000005990: D3D940AB 18000115
	s_waitcnt lgkmcnt(0)                                       // 000000005998: BF8CC07F
	v_mfma_f32_16x16x32_fp8_fp8 v[56:59], a[72:73], v[40:41], v[56:59]// 00000000599C: D3F30038 0CE25148
	ds_read_b128 a[104:107], v7 offset:45312                   // 0000000059A4: DBFEB100 68000007
	ds_read_b128 a[108:111], v7 offset:46336                   // 0000000059AC: DBFEB500 6C000007
	v_mfma_f32_16x16x32_fp8_fp8 v[60:63], a[74:75], v[40:41], v[60:63]// 0000000059B4: D3F3003C 0CF2514A
	v_mfma_f32_16x16x32_fp8_fp8 v[64:67], a[76:77], v[40:41], v[64:67]// 0000000059BC: D3F30040 0D02514C
	v_mfma_f32_16x16x32_fp8_fp8 v[68:71], a[78:79], v[40:41], v[68:71]// 0000000059C4: D3F30044 0D12514E
	v_mfma_f32_16x16x32_fp8_fp8 v[72:75], a[80:81], v[40:41], v[72:75]// 0000000059CC: D3F30048 0D225150
	ds_read_b128 a[112:115], v7 offset:47360                   // 0000000059D4: DBFEB900 70000007
	ds_read_b128 a[116:119], v7 offset:48384                   // 0000000059DC: DBFEBD00 74000007
	v_mfma_f32_16x16x32_fp8_fp8 v[76:79], a[82:83], v[40:41], v[76:79]// 0000000059E4: D3F3004C 0D325152
	v_mfma_f32_16x16x32_fp8_fp8 v[80:83], a[84:85], v[40:41], v[80:83]// 0000000059EC: D3F30050 0D425154
	v_mfma_f32_16x16x32_fp8_fp8 v[84:87], a[86:87], v[40:41], v[84:87]// 0000000059F4: D3F30054 0D525156
	v_mfma_f32_16x16x32_fp8_fp8 v[88:91], a[88:89], v[40:41], v[88:91]// 0000000059FC: D3F30058 0D625158
	ds_read_b128 a[120:123], v7 offset:49408                   // 000000005A04: DBFEC100 78000007
	ds_read_b128 a[124:127], v7 offset:50432                   // 000000005A0C: DBFEC500 7C000007
	v_mfma_f32_16x16x32_fp8_fp8 v[92:95], a[90:91], v[40:41], v[92:95]// 000000005A14: D3F3005C 0D72515A
	v_mfma_f32_16x16x32_fp8_fp8 v[96:99], a[92:93], v[40:41], v[96:99]// 000000005A1C: D3F30060 0D82515C
	v_mfma_f32_16x16x32_fp8_fp8 v[100:103], a[94:95], v[40:41], v[100:103]// 000000005A24: D3F30064 0D92515E
	v_mfma_f32_16x16x32_fp8_fp8 v[104:107], a[96:97], v[40:41], v[104:107]// 000000005A2C: D3F30068 0DA25160
	ds_read_b128 a[128:131], v7 offset:51456                   // 000000005A34: DBFEC900 80000007
	ds_read_b128 a[132:135], v7 offset:52480                   // 000000005A3C: DBFECD00 84000007
	v_mfma_f32_16x16x32_fp8_fp8 v[108:111], a[98:99], v[40:41], v[108:111]// 000000005A44: D3F3006C 0DB25162
	v_mfma_f32_16x16x32_fp8_fp8 v[112:115], a[100:101], v[40:41], v[112:115]// 000000005A4C: D3F30070 0DC25164
	v_mfma_f32_16x16x32_fp8_fp8 v[116:119], a[102:103], v[40:41], v[116:119]// 000000005A54: D3F30074 0DD25166
	s_waitcnt lgkmcnt(4)                                       // 000000005A5C: BF8CC47F
	v_mfma_f32_16x16x32_fp8_fp8 v[120:123], a[104:105], v[40:41], v[120:123]// 000000005A60: D3F30078 0DE25168
	v_max3_f32 v24, v48, v49, v48                              // 000000005A68: D1D30018 04C26330
	v_max3_f32 v24, v50, v51, v24                              // 000000005A70: D1D30018 04626732
	v_max3_f32 v24, v52, v53, v24                              // 000000005A78: D1D30018 04626B34
	v_max3_f32 v24, v54, v55, v24                              // 000000005A80: D1D30018 04626F36
	ds_write_b32 v3, v24 offset:54528                          // 000000005A88: D81AD500 00001803
	v_mfma_f32_16x16x32_fp8_fp8 v[124:127], a[106:107], v[40:41], v[124:127]// 000000005A90: D3F3007C 0DF2516A
	v_mfma_f32_16x16x32_fp8_fp8 v[128:131], a[108:109], v[40:41], v[128:131]// 000000005A98: D3F30080 0E02516C
	v_mfma_f32_16x16x32_fp8_fp8 v[132:135], a[110:111], v[40:41], v[132:135]// 000000005AA0: D3F30084 0E12516E
	v_mfma_f32_16x16x32_fp8_fp8 v[136:139], a[112:113], v[40:41], v[136:139]// 000000005AA8: D3F30088 0E225170
	v_mfma_f32_16x16x32_fp8_fp8 v[140:143], a[114:115], v[40:41], v[140:143]// 000000005AB0: D3F3008C 0E325172
	v_mfma_f32_16x16x32_fp8_fp8 v[144:147], a[116:117], v[40:41], v[144:147]// 000000005AB8: D3F30090 0E425174
	v_mfma_f32_16x16x32_fp8_fp8 v[148:151], a[118:119], v[40:41], v[148:151]// 000000005AC0: D3F30094 0E525176
	s_waitcnt lgkmcnt(0)                                       // 000000005AC8: BF8CC07F
	v_mfma_f32_16x16x32_fp8_fp8 v[152:155], a[120:121], v[40:41], v[152:155]// 000000005ACC: D3F30098 0E625178
	s_waitcnt lgkmcnt(0)                                       // 000000005AD4: BF8CC07F
	ds_read_b32 v20, v2 offset:54528                           // 000000005AD8: D86CD500 14000002
	ds_read_b32 v21, v2 offset:54592                           // 000000005AE0: D86CD540 15000002
	v_mfma_f32_16x16x32_fp8_fp8 a[144:147], a[122:123], v[40:41], a[144:147]// 000000005AE8: D3F38090 0E42517A
	ds_read_b32 v22, v2 offset:54656                           // 000000005AF0: D86CD580 16000002
	ds_read_b32 v23, v2 offset:54720                           // 000000005AF8: D86CD5C0 17000002
	v_mfma_f32_16x16x32_fp8_fp8 a[148:151], a[124:125], v[40:41], a[148:151]// 000000005B00: D3F38094 0E52517C
	v_mfma_f32_16x16x32_fp8_fp8 a[152:155], a[126:127], v[40:41], a[152:155]// 000000005B08: D3F38098 0E62517E
	v_mfma_f32_16x16x32_fp8_fp8 a[156:159], a[128:129], v[40:41], a[156:159]// 000000005B10: D3F3809C 0E725180
	v_mfma_f32_16x16x32_fp8_fp8 a[160:163], a[130:131], v[40:41], a[160:163]// 000000005B18: D3F380A0 0E825182
	v_mfma_f32_16x16x32_fp8_fp8 a[164:167], a[132:133], v[40:41], a[164:167]// 000000005B20: D3F380A4 0E925184
	v_mfma_f32_16x16x32_fp8_fp8 a[168:171], a[134:135], v[40:41], a[168:171]// 000000005B28: D3F380A8 0EA25186
	s_waitcnt lgkmcnt(0)                                       // 000000005B30: BF8CC07F
	v_max3_f32 v24, v20, v21, v24                              // 000000005B34: D1D30018 04622B14
	v_max3_f32 v24, v22, v23, v24                              // 000000005B3C: D1D30018 04622F16
	v_mov_b32_e32 v25, 0xff7fffff                              // 000000005B44: 7E3202FF FF7FFFFF
	v_cmp_eq_u32_e64 s[38:39], v25, v13                        // 000000005B4C: D0CA0026 00021B19
	v_max_f32_e32 v20, v24, v13                                // 000000005B54: 16281B18
	v_sub_f32_e32 v17, v13, v20                                // 000000005B58: 0422290D
	v_cndmask_b32_e64 v17, v17, 0, s[38:39]                    // 000000005B5C: D1000011 00990111
	v_mov_b32_e32 v13, v20                                     // 000000005B64: 7E1A0314
	v_mul_f32_e32 v21, s5, v20                                 // 000000005B68: 0A2A2805
	v_mul_f32_e32 v17, s5, v17                                 // 000000005B6C: 0A222205
	v_exp_f32_e32 v17, v17                                     // 000000005B70: 7E224111
	v_fma_f32 v48, v48, s5, -v21                               // 000000005B74: D1CB0030 84540B30
	v_fma_f32 v49, v49, s5, -v21                               // 000000005B7C: D1CB0031 84540B31
	v_fma_f32 v50, v50, s5, -v21                               // 000000005B84: D1CB0032 84540B32
	v_fma_f32 v51, v51, s5, -v21                               // 000000005B8C: D1CB0033 84540B33
	v_fma_f32 v52, v52, s5, -v21                               // 000000005B94: D1CB0034 84540B34
	v_fma_f32 v53, v53, s5, -v21                               // 000000005B9C: D1CB0035 84540B35
	v_fma_f32 v54, v54, s5, -v21                               // 000000005BA4: D1CB0036 84540B36
	v_fma_f32 v55, v55, s5, -v21                               // 000000005BAC: D1CB0037 84540B37
	v_exp_f32_e32 v48, v48                                     // 000000005BB4: 7E604130
	v_exp_f32_e32 v49, v49                                     // 000000005BB8: 7E624131
	v_exp_f32_e32 v50, v50                                     // 000000005BBC: 7E644132
	v_exp_f32_e32 v51, v51                                     // 000000005BC0: 7E664133
	v_exp_f32_e32 v52, v52                                     // 000000005BC4: 7E684134
	v_exp_f32_e32 v53, v53                                     // 000000005BC8: 7E6A4135
	v_exp_f32_e32 v54, v54                                     // 000000005BCC: 7E6C4136
	v_exp_f32_e32 v55, v55                                     // 000000005BD0: 7E6E4137
	v_mul_f32_e32 v15, v17, v15                                // 000000005BD4: 0A1E1F11
	v_mov_b32_e32 v22, v48                                     // 000000005BD8: 7E2C0330
	v_add_f32_e32 v22, v49, v22                                // 000000005BDC: 022C2D31
	v_add_f32_e32 v22, v50, v22                                // 000000005BE0: 022C2D32
	v_add_f32_e32 v22, v51, v22                                // 000000005BE4: 022C2D33
	v_add_f32_e32 v22, v52, v22                                // 000000005BE8: 022C2D34
	v_add_f32_e32 v22, v53, v22                                // 000000005BEC: 022C2D35
	v_add_f32_e32 v22, v54, v22                                // 000000005BF0: 022C2D36
	v_add_f32_e32 v22, v55, v22                                // 000000005BF4: 022C2D37
	v_add_f32_e32 v15, v22, v15                                // 000000005BF8: 021E1F16
	v_cvt_pk_fp8_f32 v42, v48, v49                             // 000000005BFC: D2A2002A 00026330
	v_cvt_pk_fp8_f32 v42, v50, v51 op_sel:[0,0,1]              // 000000005C04: D2A2402A 00026732
	v_cvt_pk_fp8_f32 v43, v52, v53                             // 000000005C0C: D2A2002B 00026B34
	v_cvt_pk_fp8_f32 v43, v54, v55 op_sel:[0,0,1]              // 000000005C14: D2A2402B 00026F36
	s_nop 0                                                    // 000000005C1C: BF800000
	v_mov_b32_e32 v22, v17                                     // 000000005C20: 7E2C0311
	v_mov_b32_e32 v23, v17                                     // 000000005C24: 7E2E0311
	v_pk_mul_f32 v[156:157], v[22:23], v[156:157]              // 000000005C28: D3B1409C 18033916
	v_pk_mul_f32 v[158:159], v[22:23], v[158:159]              // 000000005C30: D3B1409E 18033D16
	v_pk_mul_f32 v[160:161], v[22:23], v[160:161]              // 000000005C38: D3B140A0 18034116
	v_pk_mul_f32 v[162:163], v[22:23], v[162:163]              // 000000005C40: D3B140A2 18034516
	v_pk_mul_f32 v[164:165], v[22:23], v[164:165]              // 000000005C48: D3B140A4 18034916
	v_pk_mul_f32 v[166:167], v[22:23], v[166:167]              // 000000005C50: D3B140A6 18034D16
	v_pk_mul_f32 v[168:169], v[22:23], v[168:169]              // 000000005C58: D3B140A8 18035116
	v_pk_mul_f32 v[170:171], v[22:23], v[170:171]              // 000000005C60: D3B140AA 18035516
	v_pk_mul_f32 v[172:173], v[22:23], v[172:173]              // 000000005C68: D3B140AC 18035916
	v_pk_mul_f32 v[174:175], v[22:23], v[174:175]              // 000000005C70: D3B140AE 18035D16
	v_pk_mul_f32 v[176:177], v[22:23], v[176:177]              // 000000005C78: D3B140B0 18036116
	v_pk_mul_f32 v[178:179], v[22:23], v[178:179]              // 000000005C80: D3B140B2 18036516
	v_pk_mul_f32 v[180:181], v[22:23], v[180:181]              // 000000005C88: D3B140B4 18036916
	v_pk_mul_f32 v[182:183], v[22:23], v[182:183]              // 000000005C90: D3B140B6 18036D16
	v_pk_mul_f32 v[184:185], v[22:23], v[184:185]              // 000000005C98: D3B140B8 18037116
	v_pk_mul_f32 v[186:187], v[22:23], v[186:187]              // 000000005CA0: D3B140BA 18037516
	v_pk_mul_f32 v[188:189], v[22:23], v[188:189]              // 000000005CA8: D3B140BC 18037916
	v_pk_mul_f32 v[190:191], v[22:23], v[190:191]              // 000000005CB0: D3B140BE 18037D16
	v_pk_mul_f32 v[192:193], v[22:23], v[192:193]              // 000000005CB8: D3B140C0 18038116
	v_pk_mul_f32 v[194:195], v[22:23], v[194:195]              // 000000005CC0: D3B140C2 18038516
	v_pk_mul_f32 v[196:197], v[22:23], v[196:197]              // 000000005CC8: D3B140C4 18038916
	v_pk_mul_f32 v[198:199], v[22:23], v[198:199]              // 000000005CD0: D3B140C6 18038D16
	v_pk_mul_f32 v[200:201], v[22:23], v[200:201]              // 000000005CD8: D3B140C8 18039116
	v_pk_mul_f32 v[202:203], v[22:23], v[202:203]              // 000000005CE0: D3B140CA 18039516
	v_pk_mul_f32 v[204:205], v[22:23], v[204:205]              // 000000005CE8: D3B140CC 18039916
	v_pk_mul_f32 v[206:207], v[22:23], v[206:207]              // 000000005CF0: D3B140CE 18039D16
	v_pk_mul_f32 v[208:209], v[22:23], v[208:209]              // 000000005CF8: D3B140D0 1803A116
	v_pk_mul_f32 v[210:211], v[22:23], v[210:211]              // 000000005D00: D3B140D2 1803A516
	v_pk_mul_f32 v[212:213], v[22:23], v[212:213]              // 000000005D08: D3B140D4 1803A916
	v_pk_mul_f32 v[214:215], v[22:23], v[214:215]              // 000000005D10: D3B140D6 1803AD16
	v_pk_mul_f32 v[216:217], v[22:23], v[216:217]              // 000000005D18: D3B140D8 1803B116
	v_pk_mul_f32 v[218:219], v[22:23], v[218:219]              // 000000005D20: D3B140DA 1803B516
	v_pk_mul_f32 v[220:221], v[22:23], v[220:221]              // 000000005D28: D3B140DC 1803B916
	v_pk_mul_f32 v[222:223], v[22:23], v[222:223]              // 000000005D30: D3B140DE 1803BD16
	v_pk_mul_f32 v[224:225], v[22:23], v[224:225]              // 000000005D38: D3B140E0 1803C116
	v_pk_mul_f32 v[226:227], v[22:23], v[226:227]              // 000000005D40: D3B140E2 1803C516
	v_pk_mul_f32 v[228:229], v[22:23], v[228:229]              // 000000005D48: D3B140E4 1803C916
	v_pk_mul_f32 v[230:231], v[22:23], v[230:231]              // 000000005D50: D3B140E6 1803CD16
	v_pk_mul_f32 v[232:233], v[22:23], v[232:233]              // 000000005D58: D3B140E8 1803D116
	v_pk_mul_f32 v[234:235], v[22:23], v[234:235]              // 000000005D60: D3B140EA 1803D516
	v_pk_mul_f32 v[236:237], v[22:23], v[236:237]              // 000000005D68: D3B140EC 1803D916
	v_pk_mul_f32 v[238:239], v[22:23], v[238:239]              // 000000005D70: D3B140EE 1803DD16
	v_pk_mul_f32 v[240:241], v[22:23], v[240:241]              // 000000005D78: D3B140F0 1803E116
	v_pk_mul_f32 v[242:243], v[22:23], v[242:243]              // 000000005D80: D3B140F2 1803E516
	v_pk_mul_f32 v[244:245], v[22:23], v[244:245]              // 000000005D88: D3B140F4 1803E916
	v_pk_mul_f32 v[246:247], v[22:23], v[246:247]              // 000000005D90: D3B140F6 1803ED16
	v_pk_mul_f32 v[248:249], v[22:23], v[248:249]              // 000000005D98: D3B140F8 1803F116
	v_pk_mul_f32 v[250:251], v[22:23], v[250:251]              // 000000005DA0: D3B140FA 1803F516
	v_pk_mul_f32 v[252:253], v[22:23], v[252:253]              // 000000005DA8: D3B140FC 1803F916
	v_pk_mul_f32 v[254:255], v[22:23], v[254:255]              // 000000005DB0: D3B140FE 1803FD16
	v_accvgpr_read_b32 v20, a172                               // 000000005DB8: D3D84014 180001AC
	v_accvgpr_read_b32 v21, a173                               // 000000005DC0: D3D84015 180001AD
	v_pk_mul_f32 v[20:21], v[22:23], v[20:21]                  // 000000005DC8: D3B14014 18022916
	v_accvgpr_write_b32 a172, v20                              // 000000005DD0: D3D940AC 18000114
	v_accvgpr_write_b32 a173, v21                              // 000000005DD8: D3D940AD 18000115
	v_accvgpr_read_b32 v20, a174                               // 000000005DE0: D3D84014 180001AE
	v_accvgpr_read_b32 v21, a175                               // 000000005DE8: D3D84015 180001AF
	v_pk_mul_f32 v[20:21], v[22:23], v[20:21]                  // 000000005DF0: D3B14014 18022916
	v_accvgpr_write_b32 a174, v20                              // 000000005DF8: D3D940AE 18000114
	v_accvgpr_write_b32 a175, v21                              // 000000005E00: D3D940AF 18000115
	v_accvgpr_read_b32 v20, a176                               // 000000005E08: D3D84014 180001B0
	v_accvgpr_read_b32 v21, a177                               // 000000005E10: D3D84015 180001B1
	v_pk_mul_f32 v[20:21], v[22:23], v[20:21]                  // 000000005E18: D3B14014 18022916
	v_accvgpr_write_b32 a176, v20                              // 000000005E20: D3D940B0 18000114
	v_accvgpr_write_b32 a177, v21                              // 000000005E28: D3D940B1 18000115
	v_accvgpr_read_b32 v20, a178                               // 000000005E30: D3D84014 180001B2
	v_accvgpr_read_b32 v21, a179                               // 000000005E38: D3D84015 180001B3
	v_pk_mul_f32 v[20:21], v[22:23], v[20:21]                  // 000000005E40: D3B14014 18022916
	v_accvgpr_write_b32 a178, v20                              // 000000005E48: D3D940B2 18000114
	v_accvgpr_write_b32 a179, v21                              // 000000005E50: D3D940B3 18000115
	v_accvgpr_read_b32 v20, a180                               // 000000005E58: D3D84014 180001B4
	v_accvgpr_read_b32 v21, a181                               // 000000005E60: D3D84015 180001B5
	v_pk_mul_f32 v[20:21], v[22:23], v[20:21]                  // 000000005E68: D3B14014 18022916
	v_accvgpr_write_b32 a180, v20                              // 000000005E70: D3D940B4 18000114
	v_accvgpr_write_b32 a181, v21                              // 000000005E78: D3D940B5 18000115
	v_accvgpr_read_b32 v20, a182                               // 000000005E80: D3D84014 180001B6
	v_accvgpr_read_b32 v21, a183                               // 000000005E88: D3D84015 180001B7
	v_pk_mul_f32 v[20:21], v[22:23], v[20:21]                  // 000000005E90: D3B14014 18022916
	v_accvgpr_write_b32 a182, v20                              // 000000005E98: D3D940B6 18000114
	v_accvgpr_write_b32 a183, v21                              // 000000005EA0: D3D940B7 18000115
	v_accvgpr_read_b32 v20, a184                               // 000000005EA8: D3D84014 180001B8
	v_accvgpr_read_b32 v21, a185                               // 000000005EB0: D3D84015 180001B9
	v_pk_mul_f32 v[20:21], v[22:23], v[20:21]                  // 000000005EB8: D3B14014 18022916
	v_accvgpr_write_b32 a184, v20                              // 000000005EC0: D3D940B8 18000114
	v_accvgpr_write_b32 a185, v21                              // 000000005EC8: D3D940B9 18000115
	v_accvgpr_read_b32 v20, a186                               // 000000005ED0: D3D84014 180001BA
	v_accvgpr_read_b32 v21, a187                               // 000000005ED8: D3D84015 180001BB
	v_pk_mul_f32 v[20:21], v[22:23], v[20:21]                  // 000000005EE0: D3B14014 18022916
	v_accvgpr_write_b32 a186, v20                              // 000000005EE8: D3D940BA 18000114
	v_accvgpr_write_b32 a187, v21                              // 000000005EF0: D3D940BB 18000115
	v_accvgpr_read_b32 v20, a188                               // 000000005EF8: D3D84014 180001BC
	v_accvgpr_read_b32 v21, a189                               // 000000005F00: D3D84015 180001BD
	v_pk_mul_f32 v[20:21], v[22:23], v[20:21]                  // 000000005F08: D3B14014 18022916
	v_accvgpr_write_b32 a188, v20                              // 000000005F10: D3D940BC 18000114
	v_accvgpr_write_b32 a189, v21                              // 000000005F18: D3D940BD 18000115
	v_accvgpr_read_b32 v20, a190                               // 000000005F20: D3D84014 180001BE
	v_accvgpr_read_b32 v21, a191                               // 000000005F28: D3D84015 180001BF
	v_pk_mul_f32 v[20:21], v[22:23], v[20:21]                  // 000000005F30: D3B14014 18022916
	v_accvgpr_write_b32 a190, v20                              // 000000005F38: D3D940BE 18000114
	v_accvgpr_write_b32 a191, v21                              // 000000005F40: D3D940BF 18000115
	v_accvgpr_read_b32 v20, a192                               // 000000005F48: D3D84014 180001C0
	v_accvgpr_read_b32 v21, a193                               // 000000005F50: D3D84015 180001C1
	v_pk_mul_f32 v[20:21], v[22:23], v[20:21]                  // 000000005F58: D3B14014 18022916
	v_accvgpr_write_b32 a192, v20                              // 000000005F60: D3D940C0 18000114
	v_accvgpr_write_b32 a193, v21                              // 000000005F68: D3D940C1 18000115
	v_accvgpr_read_b32 v20, a194                               // 000000005F70: D3D84014 180001C2
	v_accvgpr_read_b32 v21, a195                               // 000000005F78: D3D84015 180001C3
	v_pk_mul_f32 v[20:21], v[22:23], v[20:21]                  // 000000005F80: D3B14014 18022916
	v_accvgpr_write_b32 a194, v20                              // 000000005F88: D3D940C2 18000114
	v_accvgpr_write_b32 a195, v21                              // 000000005F90: D3D940C3 18000115
	v_accvgpr_read_b32 v20, a196                               // 000000005F98: D3D84014 180001C4
	v_accvgpr_read_b32 v21, a197                               // 000000005FA0: D3D84015 180001C5
	v_pk_mul_f32 v[20:21], v[22:23], v[20:21]                  // 000000005FA8: D3B14014 18022916
	v_accvgpr_write_b32 a196, v20                              // 000000005FB0: D3D940C4 18000114
	v_accvgpr_write_b32 a197, v21                              // 000000005FB8: D3D940C5 18000115
	v_accvgpr_read_b32 v20, a198                               // 000000005FC0: D3D84014 180001C6
	v_accvgpr_read_b32 v21, a199                               // 000000005FC8: D3D84015 180001C7
	v_pk_mul_f32 v[20:21], v[22:23], v[20:21]                  // 000000005FD0: D3B14014 18022916
	v_accvgpr_write_b32 a198, v20                              // 000000005FD8: D3D940C6 18000114
	v_accvgpr_write_b32 a199, v21                              // 000000005FE0: D3D940C7 18000115
	s_waitcnt vmcnt(18) lgkmcnt(0)                             // 000000005FE8: BF8C4072
	s_barrier                                                  // 000000005FEC: BF8A0000
	v_mfma_f32_16x16x32_fp8_fp8 v[156:159], a[72:73], v[42:43], v[156:159]// 000000005FF0: D3F3009C 0E725548
	v_mfma_f32_16x16x32_fp8_fp8 v[160:163], a[74:75], v[42:43], v[160:163]// 000000005FF8: D3F300A0 0E82554A
	ds_read_b32 v20, v5                                        // 000000006000: D86C0000 14000005
	ds_read_b32 v21, v5 offset:4640                            // 000000006008: D86C1220 15000005
	ds_read_b32 v22, v5 offset:9280                            // 000000006010: D86C2440 16000005
	ds_read_b32 v23, v5 offset:13920                           // 000000006018: D86C3660 17000005
	v_mfma_f32_16x16x32_fp8_fp8 v[164:167], a[76:77], v[42:43], v[164:167]// 000000006020: D3F300A4 0E92554C
	v_mfma_f32_16x16x32_fp8_fp8 v[168:171], a[78:79], v[42:43], v[168:171]// 000000006028: D3F300A8 0EA2554E
	ds_read_b32 v24, v5 offset:128                             // 000000006030: D86C0080 18000005
	ds_read_b32 v25, v5 offset:4768                            // 000000006038: D86C12A0 19000005
	ds_read_b32 v26, v5 offset:9408                            // 000000006040: D86C24C0 1A000005
	ds_read_b32 v27, v5 offset:14048                           // 000000006048: D86C36E0 1B000005
	v_mfma_f32_16x16x32_fp8_fp8 v[172:175], a[80:81], v[42:43], v[172:175]// 000000006050: D3F300AC 0EB25550
	v_mfma_f32_16x16x32_fp8_fp8 v[176:179], a[82:83], v[42:43], v[176:179]// 000000006058: D3F300B0 0EC25552
	ds_read_b128 a[72:75], v4                                  // 000000006060: DBFE0000 48000004
	ds_read_b128 a[76:79], v4 offset:256                       // 000000006068: DBFE0100 4C000004
	v_mfma_f32_16x16x32_fp8_fp8 v[180:183], a[84:85], v[42:43], v[180:183]// 000000006070: D3F300B4 0ED25554
	v_mfma_f32_16x16x32_fp8_fp8 v[184:187], a[86:87], v[42:43], v[184:187]// 000000006078: D3F300B8 0EE25556
	s_waitcnt lgkmcnt(2)                                       // 000000006080: BF8CC27F
	v_perm_b32 v32, v22, v20, s52                              // 000000006084: D1ED0020 00D22916
	v_perm_b32 v33, v22, v20, s53                              // 00000000608C: D1ED0021 00D62916
	v_perm_b32 v34, v23, v21, s52                              // 000000006094: D1ED0022 00D22B17
	v_perm_b32 v35, v23, v21, s53                              // 00000000609C: D1ED0023 00D62B17
	v_perm_b32 v28, v34, v32, s54                              // 0000000060A4: D1ED001C 00DA4122
	v_perm_b32 v36, v34, v32, s55                              // 0000000060AC: D1ED0024 00DE4122
	v_perm_b32 v30, v35, v33, s54                              // 0000000060B4: D1ED001E 00DA4323
	v_perm_b32 v38, v35, v33, s55                              // 0000000060BC: D1ED0026 00DE4323
	v_mfma_f32_16x16x32_fp8_fp8 v[188:191], a[88:89], v[42:43], v[188:191]// 0000000060C4: D3F300BC 0EF25558
	v_mfma_f32_16x16x32_fp8_fp8 v[192:195], a[90:91], v[42:43], v[192:195]// 0000000060CC: D3F300C0 0F02555A
	v_perm_b32 v32, v26, v24, s52                              // 0000000060D4: D1ED0020 00D2311A
	v_perm_b32 v33, v26, v24, s53                              // 0000000060DC: D1ED0021 00D6311A
	v_perm_b32 v34, v27, v25, s52                              // 0000000060E4: D1ED0022 00D2331B
	v_perm_b32 v35, v27, v25, s53                              // 0000000060EC: D1ED0023 00D6331B
	v_perm_b32 v29, v34, v32, s54                              // 0000000060F4: D1ED001D 00DA4122
	v_perm_b32 v37, v34, v32, s55                              // 0000000060FC: D1ED0025 00DE4122
	v_perm_b32 v31, v35, v33, s54                              // 000000006104: D1ED001F 00DA4323
	v_perm_b32 v39, v35, v33, s55                              // 00000000610C: D1ED0027 00DE4323
	v_mfma_f32_16x16x32_fp8_fp8 v[196:199], a[92:93], v[42:43], v[196:199]// 000000006114: D3F300C4 0F12555C
	v_mfma_f32_16x16x32_fp8_fp8 v[200:203], a[94:95], v[42:43], v[200:203]// 00000000611C: D3F300C8 0F22555E
	ds_write_b128 v6, v[28:31] offset:37120                    // 000000006124: D9BE9100 00001C06
	v_mfma_f32_16x16x32_fp8_fp8 v[204:207], a[96:97], v[42:43], v[204:207]// 00000000612C: D3F300CC 0F325560
	v_mfma_f32_16x16x32_fp8_fp8 v[208:211], a[98:99], v[42:43], v[208:211]// 000000006134: D3F300D0 0F425562
	ds_write_b128 v6, v[36:39] offset:38144                    // 00000000613C: D9BE9500 00002406
	v_mfma_f32_16x16x32_fp8_fp8 v[212:215], a[100:101], v[42:43], v[212:215]// 000000006144: D3F300D4 0F525564
	v_mfma_f32_16x16x32_fp8_fp8 v[216:219], a[102:103], v[42:43], v[216:219]// 00000000614C: D3F300D8 0F625566
	v_mfma_f32_16x16x32_fp8_fp8 v[220:223], a[104:105], v[42:43], v[220:223]// 000000006154: D3F300DC 0F725568
	v_mfma_f32_16x16x32_fp8_fp8 v[224:227], a[106:107], v[42:43], v[224:227]// 00000000615C: D3F300E0 0F82556A
	ds_read_b32 v20, v5 offset:1024                            // 000000006164: D86C0400 14000005
	ds_read_b32 v21, v5 offset:5664                            // 00000000616C: D86C1620 15000005
	ds_read_b32 v22, v5 offset:10304                           // 000000006174: D86C2840 16000005
	ds_read_b32 v23, v5 offset:14944                           // 00000000617C: D86C3A60 17000005
	v_mfma_f32_16x16x32_fp8_fp8 v[228:231], a[108:109], v[42:43], v[228:231]// 000000006184: D3F300E4 0F92556C
	v_mfma_f32_16x16x32_fp8_fp8 v[232:235], a[110:111], v[42:43], v[232:235]// 00000000618C: D3F300E8 0FA2556E
	ds_read_b32 v24, v5 offset:1152                            // 000000006194: D86C0480 18000005
	ds_read_b32 v25, v5 offset:5792                            // 00000000619C: D86C16A0 19000005
	ds_read_b32 v26, v5 offset:10432                           // 0000000061A4: D86C28C0 1A000005
	ds_read_b32 v27, v5 offset:15072                           // 0000000061AC: D86C3AE0 1B000005
	v_mfma_f32_16x16x32_fp8_fp8 v[236:239], a[112:113], v[42:43], v[236:239]// 0000000061B4: D3F300EC 0FB25570
	v_mfma_f32_16x16x32_fp8_fp8 v[240:243], a[114:115], v[42:43], v[240:243]// 0000000061BC: D3F300F0 0FC25572
	ds_read_b128 a[80:83], v4 offset:512                       // 0000000061C4: DBFE0200 50000004
	ds_read_b128 a[84:87], v4 offset:768                       // 0000000061CC: DBFE0300 54000004
	v_mfma_f32_16x16x32_fp8_fp8 v[244:247], a[116:117], v[42:43], v[244:247]// 0000000061D4: D3F300F4 0FD25574
	v_mfma_f32_16x16x32_fp8_fp8 v[248:251], a[118:119], v[42:43], v[248:251]// 0000000061DC: D3F300F8 0FE25576
	v_mfma_f32_16x16x32_fp8_fp8 v[252:255], a[120:121], v[42:43], v[252:255]// 0000000061E4: D3F300FC 0FF25578
	v_mfma_f32_16x16x32_fp8_fp8 a[172:175], a[122:123], v[42:43], a[172:175]// 0000000061EC: D3F380AC 0EB2557A
	ds_read_b128 a[88:91], v4 offset:1024                      // 0000000061F4: DBFE0400 58000004
	ds_read_b128 a[92:95], v4 offset:1280                      // 0000000061FC: DBFE0500 5C000004
	v_mfma_f32_16x16x32_fp8_fp8 a[176:179], a[124:125], v[42:43], a[176:179]// 000000006204: D3F380B0 0EC2557C
	v_mfma_f32_16x16x32_fp8_fp8 a[180:183], a[126:127], v[42:43], a[180:183]// 00000000620C: D3F380B4 0ED2557E
	v_mfma_f32_16x16x32_fp8_fp8 a[184:187], a[128:129], v[42:43], a[184:187]// 000000006214: D3F380B8 0EE25580
	v_mfma_f32_16x16x32_fp8_fp8 a[188:191], a[130:131], v[42:43], a[188:191]// 00000000621C: D3F380BC 0EF25582
	ds_read_b128 a[96:99], v4 offset:1536                      // 000000006224: DBFE0600 60000004
	ds_read_b128 a[100:103], v4 offset:1792                    // 00000000622C: DBFE0700 64000004
	v_mfma_f32_16x16x32_fp8_fp8 a[192:195], a[132:133], v[42:43], a[192:195]// 000000006234: D3F380C0 0F025584
	v_mfma_f32_16x16x32_fp8_fp8 a[196:199], a[134:135], v[42:43], a[196:199]// 00000000623C: D3F380C4 0F125586
	s_nop 0                                                    // 000000006244: BF800000
	s_addk_i32 s70, 0x1                                        // 000000006248: B7460001
	s_cmp_lt_i32 s70, s71                                      // 00000000624C: BF044746
	s_cbranch_scc0 label_0FD6                                  // 000000006250: BF840001
	s_branch label_05A1                                        // 000000006254: BF82F5CB

0000000000006258 <label_0FD6>:
	s_nop 0                                                    // 000000006258: BF800000
	s_nop 0                                                    // 00000000625C: BF800000
	s_branch label_1A0E                                        // 000000006260: BF820A35

0000000000006264 <label_0FD9>:
	s_waitcnt lgkmcnt(4)                                       // 000000006264: BF8CC47F
	v_mfma_f32_16x16x32_fp8_fp8 v[40:43], a[72:73], a[0:1], 0  // 000000006268: D3F30028 1A020148
	buffer_load_dword v10, v8, s[24:27], 0 offen               // 000000006270: E0501000 80060A08
	v_mfma_f32_16x16x32_fp8_fp8 v[40:43], a[74:75], a[2:3], v[40:43]// 000000006278: D3F30028 1CA2054A
	ds_read_b128 a[104:107], v4 offset:2048                    // 000000006280: DBFE0800 68000004
	ds_read_b128 a[108:111], v4 offset:128                     // 000000006288: DBFE0080 6C000004
	v_mfma_f32_16x16x32_fp8_fp8 v[40:43], a[76:77], a[4:5], v[40:43]// 000000006290: D3F30028 1CA2094C
	v_mfma_f32_16x16x32_fp8_fp8 v[40:43], a[78:79], a[6:7], v[40:43]// 000000006298: D3F30028 1CA20D4E
	v_mfma_f32_16x16x32_fp8_fp8 v[40:43], a[80:81], a[8:9], v[40:43]// 0000000062A0: D3F30028 1CA21150
	v_mfma_f32_16x16x32_fp8_fp8 v[40:43], a[82:83], a[10:11], v[40:43]// 0000000062A8: D3F30028 1CA21552
	ds_read_b128 a[112:115], v4 offset:384                     // 0000000062B0: DBFE0180 70000004
	ds_read_b128 a[116:119], v4 offset:640                     // 0000000062B8: DBFE0280 74000004
	v_mfma_f32_16x16x32_fp8_fp8 v[40:43], a[84:85], a[12:13], v[40:43]// 0000000062C0: D3F30028 1CA21954
	v_mfma_f32_16x16x32_fp8_fp8 v[40:43], a[86:87], a[14:15], v[40:43]// 0000000062C8: D3F30028 1CA21D56
	s_waitcnt lgkmcnt(4)                                       // 0000000062D0: BF8CC47F
	v_mfma_f32_16x16x32_fp8_fp8 v[40:43], a[88:89], a[16:17], v[40:43]// 0000000062D4: D3F30028 1CA22158
	v_mfma_f32_16x16x32_fp8_fp8 v[40:43], a[90:91], a[18:19], v[40:43]// 0000000062DC: D3F30028 1CA2255A
	ds_read_b128 a[120:123], v4 offset:896                     // 0000000062E4: DBFE0380 78000004
	ds_read_b128 a[124:127], v4 offset:1152                    // 0000000062EC: DBFE0480 7C000004
	v_mfma_f32_16x16x32_fp8_fp8 v[40:43], a[92:93], a[20:21], v[40:43]// 0000000062F4: D3F30028 1CA2295C
	v_mfma_f32_16x16x32_fp8_fp8 v[40:43], a[94:95], a[22:23], v[40:43]// 0000000062FC: D3F30028 1CA22D5E
	v_mfma_f32_16x16x32_fp8_fp8 v[40:43], a[96:97], a[24:25], v[40:43]// 000000006304: D3F30028 1CA23160
	v_mfma_f32_16x16x32_fp8_fp8 v[40:43], a[98:99], a[26:27], v[40:43]// 00000000630C: D3F30028 1CA23562
	ds_read_b128 a[128:131], v4 offset:1408                    // 000000006314: DBFE0580 80000004
	ds_read_b128 a[132:135], v4 offset:1664                    // 00000000631C: DBFE0680 84000004
	v_mfma_f32_16x16x32_fp8_fp8 v[40:43], a[100:101], a[28:29], v[40:43]// 000000006324: D3F30028 1CA23964
	v_mfma_f32_16x16x32_fp8_fp8 v[40:43], a[102:103], a[30:31], v[40:43]// 00000000632C: D3F30028 1CA23D66
	s_waitcnt lgkmcnt(4)                                       // 000000006334: BF8CC47F
	s_barrier                                                  // 000000006338: BF8A0000
	v_mfma_f32_16x16x32_fp8_fp8 v[40:43], a[104:105], a[32:33], v[40:43]// 00000000633C: D3F30028 1CA24168
	v_mfma_f32_16x16x32_fp8_fp8 v[40:43], a[106:107], a[34:35], v[40:43]// 000000006344: D3F30028 1CA2456A
	ds_read_b128 a[136:139], v4 offset:1920                    // 00000000634C: DBFE0780 88000004
	ds_read_b128 a[140:143], v4 offset:2176                    // 000000006354: DBFE0880 8C000004
	v_mfma_f32_16x16x32_fp8_fp8 v[44:47], a[108:109], a[0:1], 0// 00000000635C: D3F3002C 1A02016C
	buffer_load_dword v18, s[20:23], 0 offen lds               // 000000006364: E0511000 80050012
	s_add_u32 m0, 0, s35                                       // 00000000636C: 807C2380
	v_mfma_f32_16x16x32_fp8_fp8 v[44:47], a[110:111], a[2:3], v[44:47]// 000000006370: D3F3002C 1CB2056E
	v_perm_b32 v32, v22, v20, s52                              // 000000006378: D1ED0020 00D22916
	v_perm_b32 v33, v22, v20, s53                              // 000000006380: D1ED0021 00D62916
	v_perm_b32 v34, v23, v21, s52                              // 000000006388: D1ED0022 00D22B17
	v_perm_b32 v35, v23, v21, s53                              // 000000006390: D1ED0023 00D62B17
	v_perm_b32 v28, v34, v32, s54                              // 000000006398: D1ED001C 00DA4122
	v_perm_b32 v36, v34, v32, s55                              // 0000000063A0: D1ED0024 00DE4122
	v_perm_b32 v30, v35, v33, s54                              // 0000000063A8: D1ED001E 00DA4323
	v_perm_b32 v38, v35, v33, s55                              // 0000000063B0: D1ED0026 00DE4323
	v_mfma_f32_16x16x32_fp8_fp8 v[44:47], a[112:113], a[4:5], v[44:47]// 0000000063B8: D3F3002C 1CB20970
	buffer_load_dword v19, s[20:23], 0 offen lds               // 0000000063C0: E0511000 80050013
	s_add_u32 m0, 0xc0, s34                                    // 0000000063C8: 807C22FF 000000C0
	v_mfma_f32_16x16x32_fp8_fp8 v[44:47], a[114:115], a[6:7], v[44:47]// 0000000063D0: D3F3002C 1CB20D72
	v_perm_b32 v32, v26, v24, s52                              // 0000000063D8: D1ED0020 00D2311A
	v_perm_b32 v33, v26, v24, s53                              // 0000000063E0: D1ED0021 00D6311A
	v_perm_b32 v34, v27, v25, s52                              // 0000000063E8: D1ED0022 00D2331B
	v_perm_b32 v35, v27, v25, s53                              // 0000000063F0: D1ED0023 00D6331B
	v_perm_b32 v29, v34, v32, s54                              // 0000000063F8: D1ED001D 00DA4122
	v_perm_b32 v37, v34, v32, s55                              // 000000006400: D1ED0025 00DE4122
	v_perm_b32 v31, v35, v33, s54                              // 000000006408: D1ED001F 00DA4323
	v_perm_b32 v39, v35, v33, s55                              // 000000006410: D1ED0027 00DE4323
	v_mfma_f32_16x16x32_fp8_fp8 v[44:47], a[116:117], a[8:9], v[44:47]// 000000006418: D3F3002C 1CB21174
	buffer_load_dword v18, s[20:23], 0 offen offset:64 lds     // 000000006420: E0511040 80050012
	s_add_u32 m0, 0xc0, s35                                    // 000000006428: 807C23FF 000000C0
	v_mfma_f32_16x16x32_fp8_fp8 v[44:47], a[118:119], a[10:11], v[44:47]// 000000006430: D3F3002C 1CB21576
	ds_write_b128 v6, v[28:31] offset:45312                    // 000000006438: D9BEB100 00001C06
	s_waitcnt lgkmcnt(1)                                       // 000000006440: BF8CC17F
	v_mfma_f32_16x16x32_fp8_fp8 v[44:47], a[120:121], a[12:13], v[44:47]// 000000006444: D3F3002C 1CB21978
	buffer_load_dword v19, s[20:23], 0 offen offset:64 lds     // 00000000644C: E0511040 80050013
	s_add_u32 m0, 0x180, s34                                   // 000000006454: 807C22FF 00000180
	v_mfma_f32_16x16x32_fp8_fp8 v[44:47], a[122:123], a[14:15], v[44:47]// 00000000645C: D3F3002C 1CB21D7A
	ds_write_b128 v6, v[36:39] offset:46336                    // 000000006464: D9BEB500 00002406
	v_mfma_f32_16x16x32_fp8_fp8 v[44:47], a[124:125], a[16:17], v[44:47]// 00000000646C: D3F3002C 1CB2217C
	buffer_load_dword v18, s[20:23], 0 offen offset:128 lds    // 000000006474: E0511080 80050012
	s_add_u32 m0, 0x180, s35                                   // 00000000647C: 807C23FF 00000180
	v_mfma_f32_16x16x32_fp8_fp8 v[44:47], a[126:127], a[18:19], v[44:47]// 000000006484: D3F3002C 1CB2257E
	v_mfma_f32_16x16x32_fp8_fp8 v[44:47], a[128:129], a[20:21], v[44:47]// 00000000648C: D3F3002C 1CB22980
	buffer_load_dword v19, s[20:23], 0 offen offset:128 lds    // 000000006494: E0511080 80050013
	s_add_u32 m0, 0x240, s34                                   // 00000000649C: 807C22FF 00000240
	v_mfma_f32_16x16x32_fp8_fp8 v[44:47], a[130:131], a[22:23], v[44:47]// 0000000064A4: D3F3002C 1CB22D82
	v_mfma_f32_16x16x32_fp8_fp8 v[44:47], a[132:133], a[24:25], v[44:47]// 0000000064AC: D3F3002C 1CB23184
	buffer_load_dword v18, s[20:23], 0 offen offset:192 lds    // 0000000064B4: E05110C0 80050012
	s_add_u32 m0, 0x240, s35                                   // 0000000064BC: 807C23FF 00000240
	v_mfma_f32_16x16x32_fp8_fp8 v[44:47], a[134:135], a[26:27], v[44:47]// 0000000064C4: D3F3002C 1CB23586
	v_mfma_f32_16x16x32_fp8_fp8 v[44:47], a[136:137], a[28:29], v[44:47]// 0000000064CC: D3F3002C 1CB23988
	buffer_load_dword v19, s[20:23], 0 offen offset:192 lds    // 0000000064D4: E05110C0 80050013
	s_add_u32 m0, 0x300, s34                                   // 0000000064DC: 807C22FF 00000300
	v_mfma_f32_16x16x32_fp8_fp8 v[44:47], a[138:139], a[30:31], v[44:47]// 0000000064E4: D3F3002C 1CB23D8A
	v_mfma_f32_16x16x32_fp8_fp8 v[44:47], a[140:141], a[32:33], v[44:47]// 0000000064EC: D3F3002C 1CB2418C
	buffer_load_dword v18, s[20:23], 0 offen offset:256 lds    // 0000000064F4: E0511100 80050012
	s_add_u32 m0, 0x300, s35                                   // 0000000064FC: 807C23FF 00000300
	v_mfma_f32_16x16x32_fp8_fp8 v[44:47], a[142:143], a[34:35], v[44:47]// 000000006504: D3F3002C 1CB2458E
	v_add_u32_e32 v8, s73, v8                                  // 00000000650C: 68101049
	s_cmp_le_i32 s83, s82                                      // 000000006510: BF055253
	s_cbranch_scc1 label_10C0                                  // 000000006514: BF85003A
	v_mov_b32_e32 v25, 0xff800000                              // 000000006518: 7E3202FF FF800000
	v_mov_b32_e32 v24, s82                                     // 000000006520: 7E300252
	s_sub_u32 s56, s83, 31                                     // 000000006524: 80B89F53
	v_lshrrev_b32_e32 v20, 4, v0                               // 000000006528: 20280084
	v_mul_i32_i24_e32 v20, 4, v20                              // 00000000652C: 0C282884
	v_add_u32_e32 v20, s56, v20                                // 000000006530: 68282838
	v_add_u32_e32 v21, 1, v20                                  // 000000006534: 682A2881
	v_add_u32_e32 v22, 2, v20                                  // 000000006538: 682C2882
	v_add_u32_e32 v23, 3, v20                                  // 00000000653C: 682E2883
	v_cmp_le_u32_e64 s[38:39], v20, v24                        // 000000006540: D0CB0026 00023114
	v_add_u32_e32 v20, 16, v20                                 // 000000006548: 68282890
	s_nop 0                                                    // 00000000654C: BF800000
	v_cndmask_b32_e64 v40, v25, v40, s[38:39]                  // 000000006550: D1000028 009A5119
	v_cmp_le_u32_e64 s[38:39], v21, v24                        // 000000006558: D0CB0026 00023115
	v_add_u32_e32 v21, 16, v21                                 // 000000006560: 682A2A90
	s_nop 0                                                    // 000000006564: BF800000
	v_cndmask_b32_e64 v41, v25, v41, s[38:39]                  // 000000006568: D1000029 009A5319
	v_cmp_le_u32_e64 s[38:39], v22, v24                        // 000000006570: D0CB0026 00023116
	v_add_u32_e32 v22, 16, v22                                 // 000000006578: 682C2C90
	s_nop 0                                                    // 00000000657C: BF800000
	v_cndmask_b32_e64 v42, v25, v42, s[38:39]                  // 000000006580: D100002A 009A5519
	v_cmp_le_u32_e64 s[38:39], v23, v24                        // 000000006588: D0CB0026 00023117
	v_add_u32_e32 v23, 16, v23                                 // 000000006590: 682E2E90
	s_nop 0                                                    // 000000006594: BF800000
	v_cndmask_b32_e64 v43, v25, v43, s[38:39]                  // 000000006598: D100002B 009A5719
	v_cmp_le_u32_e64 s[38:39], v20, v24                        // 0000000065A0: D0CB0026 00023114
	v_add_u32_e32 v20, 16, v20                                 // 0000000065A8: 68282890
	s_nop 0                                                    // 0000000065AC: BF800000
	v_cndmask_b32_e64 v44, v25, v44, s[38:39]                  // 0000000065B0: D100002C 009A5919
	v_cmp_le_u32_e64 s[38:39], v21, v24                        // 0000000065B8: D0CB0026 00023115
	v_add_u32_e32 v21, 16, v21                                 // 0000000065C0: 682A2A90
	s_nop 0                                                    // 0000000065C4: BF800000
	v_cndmask_b32_e64 v45, v25, v45, s[38:39]                  // 0000000065C8: D100002D 009A5B19
	v_cmp_le_u32_e64 s[38:39], v22, v24                        // 0000000065D0: D0CB0026 00023116
	v_add_u32_e32 v22, 16, v22                                 // 0000000065D8: 682C2C90
	s_nop 0                                                    // 0000000065DC: BF800000
	v_cndmask_b32_e64 v46, v25, v46, s[38:39]                  // 0000000065E0: D100002E 009A5D19
	v_cmp_le_u32_e64 s[38:39], v23, v24                        // 0000000065E8: D0CB0026 00023117
	v_add_u32_e32 v23, 16, v23                                 // 0000000065F0: 682E2E90
	s_nop 0                                                    // 0000000065F4: BF800000
	v_cndmask_b32_e64 v47, v25, v47, s[38:39]                  // 0000000065F8: D100002F 009A5F19

0000000000006600 <label_10C0>:
	s_waitcnt lgkmcnt(0)                                       // 000000006600: BF8CC07F
	s_barrier                                                  // 000000006604: BF8A0000
	v_mfma_f32_16x16x32_fp8_fp8 v[48:51], a[72:73], a[36:37], 0// 000000006608: D3F30030 1A024948
	v_mfma_f32_16x16x32_fp8_fp8 v[48:51], a[74:75], a[38:39], v[48:51]// 000000006610: D3F30030 1CC24D4A
	v_max3_f32 v24, v40, v41, v40                              // 000000006618: D1D30018 04A25328
	v_max3_f32 v24, v42, v43, v24                              // 000000006620: D1D30018 0462572A
	v_max3_f32 v24, v44, v45, v24                              // 000000006628: D1D30018 04625B2C
	v_max3_f32 v24, v46, v47, v24                              // 000000006630: D1D30018 04625F2E
	ds_write_b32 v3, v24 offset:53504                          // 000000006638: D81AD100 00001803
	v_mfma_f32_16x16x32_fp8_fp8 v[48:51], a[76:77], a[40:41], v[48:51]// 000000006640: D3F30030 1CC2514C
	buffer_load_dword v19, s[20:23], 0 offen offset:256 lds    // 000000006648: E0511100 80050013
	s_add_u32 m0, 0x3c0, s34                                   // 000000006650: 807C22FF 000003C0
	v_mfma_f32_16x16x32_fp8_fp8 v[48:51], a[78:79], a[42:43], v[48:51]// 000000006658: D3F30030 1CC2554E
	v_mfma_f32_16x16x32_fp8_fp8 v[48:51], a[80:81], a[44:45], v[48:51]// 000000006660: D3F30030 1CC25950
	buffer_load_dword v18, s[20:23], 0 offen offset:320 lds    // 000000006668: E0511140 80050012
	s_add_u32 m0, 0x3c0, s35                                   // 000000006670: 807C23FF 000003C0
	v_mfma_f32_16x16x32_fp8_fp8 v[48:51], a[82:83], a[46:47], v[48:51]// 000000006678: D3F30030 1CC25D52
	v_mfma_f32_16x16x32_fp8_fp8 v[48:51], a[84:85], a[48:49], v[48:51]// 000000006680: D3F30030 1CC26154
	s_waitcnt lgkmcnt(0)                                       // 000000006688: BF8CC07F
	ds_read_b32 v20, v2 offset:53504                           // 00000000668C: D86CD100 14000002
	ds_read_b32 v21, v2 offset:53568                           // 000000006694: D86CD140 15000002
	v_mfma_f32_16x16x32_fp8_fp8 v[48:51], a[86:87], a[50:51], v[48:51]// 00000000669C: D3F30030 1CC26556
	ds_read_b32 v22, v2 offset:53632                           // 0000000066A4: D86CD180 16000002
	ds_read_b32 v23, v2 offset:53696                           // 0000000066AC: D86CD1C0 17000002
	v_mfma_f32_16x16x32_fp8_fp8 v[48:51], a[88:89], a[52:53], v[48:51]// 0000000066B4: D3F30030 1CC26958
	buffer_load_dword v19, s[20:23], 0 offen offset:320 lds    // 0000000066BC: E0511140 80050013
	s_add_u32 m0, 0x480, s34                                   // 0000000066C4: 807C22FF 00000480
	v_mfma_f32_16x16x32_fp8_fp8 v[48:51], a[90:91], a[54:55], v[48:51]// 0000000066CC: D3F30030 1CC26D5A
	v_mfma_f32_16x16x32_fp8_fp8 v[48:51], a[92:93], a[56:57], v[48:51]// 0000000066D4: D3F30030 1CC2715C
	buffer_load_dword v18, s[20:23], 0 offen offset:384 lds    // 0000000066DC: E0511180 80050012
	s_add_u32 m0, 0x480, s35                                   // 0000000066E4: 807C23FF 00000480
	v_mfma_f32_16x16x32_fp8_fp8 v[48:51], a[94:95], a[58:59], v[48:51]// 0000000066EC: D3F30030 1CC2755E
	v_mfma_f32_16x16x32_fp8_fp8 v[48:51], a[96:97], a[60:61], v[48:51]// 0000000066F4: D3F30030 1CC27960
	buffer_load_dword v19, s[20:23], 0 offen offset:384 lds    // 0000000066FC: E0511180 80050013
	s_add_u32 m0, 0x540, s34                                   // 000000006704: 807C22FF 00000540
	v_mfma_f32_16x16x32_fp8_fp8 v[48:51], a[98:99], a[62:63], v[48:51]// 00000000670C: D3F30030 1CC27D62
	v_mfma_f32_16x16x32_fp8_fp8 v[48:51], a[100:101], a[64:65], v[48:51]// 000000006714: D3F30030 1CC28164
	s_waitcnt lgkmcnt(0)                                       // 00000000671C: BF8CC07F
	v_max3_f32 v24, v20, v21, v24                              // 000000006720: D1D30018 04622B14
	v_max3_f32 v24, v22, v23, v24                              // 000000006728: D1D30018 04622F16
	v_mfma_f32_16x16x32_fp8_fp8 v[48:51], a[102:103], a[66:67], v[48:51]// 000000006730: D3F30030 1CC28566
	v_mfma_f32_16x16x32_fp8_fp8 v[48:51], a[104:105], a[68:69], v[48:51]// 000000006738: D3F30030 1CC28968
	buffer_load_dword v18, s[20:23], 0 offen offset:448 lds    // 000000006740: E05111C0 80050012
	s_add_u32 m0, 0x540, s35                                   // 000000006748: 807C23FF 00000540
	v_mfma_f32_16x16x32_fp8_fp8 v[48:51], a[106:107], a[70:71], v[48:51]// 000000006750: D3F30030 1CC28D6A
	v_mfma_f32_16x16x32_fp8_fp8 v[52:55], a[108:109], a[36:37], 0// 000000006758: D3F30034 1A02496C
	buffer_load_dword v19, s[20:23], 0 offen offset:448 lds    // 000000006760: E05111C0 80050013
	s_add_u32 m0, 0x600, s34                                   // 000000006768: 807C22FF 00000600
	v_mfma_f32_16x16x32_fp8_fp8 v[52:55], a[110:111], a[38:39], v[52:55]// 000000006770: D3F30034 1CD24D6E
	v_mfma_f32_16x16x32_fp8_fp8 v[52:55], a[112:113], a[40:41], v[52:55]// 000000006778: D3F30034 1CD25170
	buffer_load_dword v18, s[20:23], 0 offen offset:512 lds    // 000000006780: E0511200 80050012
	s_add_u32 m0, 0x600, s35                                   // 000000006788: 807C23FF 00000600
	v_mfma_f32_16x16x32_fp8_fp8 v[52:55], a[114:115], a[42:43], v[52:55]// 000000006790: D3F30034 1CD25572
	ds_read_b128 a[72:75], v7 offset:37120                     // 000000006798: DBFE9100 48000007
	ds_read_b128 a[76:79], v7 offset:38144                     // 0000000067A0: DBFE9500 4C000007
	v_mfma_f32_16x16x32_fp8_fp8 v[52:55], a[116:117], a[44:45], v[52:55]// 0000000067A8: D3F30034 1CD25974
	v_mfma_f32_16x16x32_fp8_fp8 v[52:55], a[118:119], a[46:47], v[52:55]// 0000000067B0: D3F30034 1CD25D76
	v_mfma_f32_16x16x32_fp8_fp8 v[52:55], a[120:121], a[48:49], v[52:55]// 0000000067B8: D3F30034 1CD26178
	buffer_load_dword v19, s[20:23], 0 offen offset:512 lds    // 0000000067C0: E0511200 80050013
	s_add_u32 m0, 0x6c0, s34                                   // 0000000067C8: 807C22FF 000006C0
	v_mfma_f32_16x16x32_fp8_fp8 v[52:55], a[122:123], a[50:51], v[52:55]// 0000000067D0: D3F30034 1CD2657A
	ds_read_b128 a[80:83], v7 offset:39168                     // 0000000067D8: DBFE9900 50000007
	ds_read_b128 a[84:87], v7 offset:40192                     // 0000000067E0: DBFE9D00 54000007
	v_mfma_f32_16x16x32_fp8_fp8 v[52:55], a[124:125], a[52:53], v[52:55]// 0000000067E8: D3F30034 1CD2697C
	v_mfma_f32_16x16x32_fp8_fp8 v[52:55], a[126:127], a[54:55], v[52:55]// 0000000067F0: D3F30034 1CD26D7E
	v_mfma_f32_16x16x32_fp8_fp8 v[52:55], a[128:129], a[56:57], v[52:55]// 0000000067F8: D3F30034 1CD27180
	v_mfma_f32_16x16x32_fp8_fp8 v[52:55], a[130:131], a[58:59], v[52:55]// 000000006800: D3F30034 1CD27582
	ds_read_b128 a[88:91], v7 offset:41216                     // 000000006808: DBFEA100 58000007
	ds_read_b128 a[92:95], v7 offset:42240                     // 000000006810: DBFEA500 5C000007
	v_mfma_f32_16x16x32_fp8_fp8 v[52:55], a[132:133], a[60:61], v[52:55]// 000000006818: D3F30034 1CD27984
	v_mfma_f32_16x16x32_fp8_fp8 v[52:55], a[134:135], a[62:63], v[52:55]// 000000006820: D3F30034 1CD27D86
	v_mfma_f32_16x16x32_fp8_fp8 v[52:55], a[136:137], a[64:65], v[52:55]// 000000006828: D3F30034 1CD28188
	v_mfma_f32_16x16x32_fp8_fp8 v[52:55], a[138:139], a[66:67], v[52:55]// 000000006830: D3F30034 1CD2858A
	ds_read_b128 a[96:99], v7 offset:43264                     // 000000006838: DBFEA900 60000007
	ds_read_b128 a[100:103], v7 offset:44288                   // 000000006840: DBFEAD00 64000007
	v_mfma_f32_16x16x32_fp8_fp8 v[52:55], a[140:141], a[68:69], v[52:55]// 000000006848: D3F30034 1CD2898C
	v_mfma_f32_16x16x32_fp8_fp8 v[52:55], a[142:143], a[70:71], v[52:55]// 000000006850: D3F30034 1CD28D8E
	v_mov_b32_e32 v25, 0xff7fffff                              // 000000006858: 7E3202FF FF7FFFFF
	v_cmp_eq_u32_e64 s[38:39], v25, v12                        // 000000006860: D0CA0026 00021919
	v_max_f32_e32 v20, v24, v12                                // 000000006868: 16281918
	v_sub_f32_e32 v16, v12, v20                                // 00000000686C: 0420290C
	v_cndmask_b32_e64 v16, v16, 0, s[38:39]                    // 000000006870: D1000010 00990110
	v_mov_b32_e32 v12, v20                                     // 000000006878: 7E180314
	v_mul_f32_e32 v21, s5, v20                                 // 00000000687C: 0A2A2805
	v_mul_f32_e32 v16, s5, v16                                 // 000000006880: 0A202005
	v_exp_f32_e32 v16, v16                                     // 000000006884: 7E204110
	v_fma_f32 v40, v40, s5, -v21                               // 000000006888: D1CB0028 84540B28
	v_fma_f32 v41, v41, s5, -v21                               // 000000006890: D1CB0029 84540B29
	v_fma_f32 v42, v42, s5, -v21                               // 000000006898: D1CB002A 84540B2A
	v_fma_f32 v43, v43, s5, -v21                               // 0000000068A0: D1CB002B 84540B2B
	v_fma_f32 v44, v44, s5, -v21                               // 0000000068A8: D1CB002C 84540B2C
	v_fma_f32 v45, v45, s5, -v21                               // 0000000068B0: D1CB002D 84540B2D
	v_fma_f32 v46, v46, s5, -v21                               // 0000000068B8: D1CB002E 84540B2E
	v_fma_f32 v47, v47, s5, -v21                               // 0000000068C0: D1CB002F 84540B2F
	v_exp_f32_e32 v40, v40                                     // 0000000068C8: 7E504128
	v_exp_f32_e32 v41, v41                                     // 0000000068CC: 7E524129
	v_exp_f32_e32 v42, v42                                     // 0000000068D0: 7E54412A
	v_exp_f32_e32 v43, v43                                     // 0000000068D4: 7E56412B
	v_exp_f32_e32 v44, v44                                     // 0000000068D8: 7E58412C
	v_exp_f32_e32 v45, v45                                     // 0000000068DC: 7E5A412D
	v_exp_f32_e32 v46, v46                                     // 0000000068E0: 7E5C412E
	v_exp_f32_e32 v47, v47                                     // 0000000068E4: 7E5E412F
	v_mul_f32_e32 v14, v16, v14                                // 0000000068E8: 0A1C1D10
	v_mov_b32_e32 v22, v40                                     // 0000000068EC: 7E2C0328
	v_add_f32_e32 v22, v41, v22                                // 0000000068F0: 022C2D29
	v_add_f32_e32 v22, v42, v22                                // 0000000068F4: 022C2D2A
	v_add_f32_e32 v22, v43, v22                                // 0000000068F8: 022C2D2B
	v_add_f32_e32 v22, v44, v22                                // 0000000068FC: 022C2D2C
	v_add_f32_e32 v22, v45, v22                                // 000000006900: 022C2D2D
	v_add_f32_e32 v22, v46, v22                                // 000000006904: 022C2D2E
	v_add_f32_e32 v22, v47, v22                                // 000000006908: 022C2D2F
	v_add_f32_e32 v14, v22, v14                                // 00000000690C: 021C1D16
	v_cvt_pk_fp8_f32 v40, v40, v41                             // 000000006910: D2A20028 00025328
	v_cvt_pk_fp8_f32 v40, v42, v43 op_sel:[0,0,1]              // 000000006918: D2A24028 0002572A
	v_cvt_pk_fp8_f32 v41, v44, v45                             // 000000006920: D2A20029 00025B2C
	v_cvt_pk_fp8_f32 v41, v46, v47 op_sel:[0,0,1]              // 000000006928: D2A24029 00025F2E
	s_nop 0                                                    // 000000006930: BF800000
	s_cmp_le_i32 s83, s82                                      // 000000006934: BF055253
	s_cbranch_scc1 label_11C9                                  // 000000006938: BF85003A
	v_mov_b32_e32 v25, 0xff800000                              // 00000000693C: 7E3202FF FF800000
	v_mov_b32_e32 v24, s82                                     // 000000006944: 7E300252
	s_sub_u32 s56, s83, 31                                     // 000000006948: 80B89F53
	v_lshrrev_b32_e32 v20, 4, v0                               // 00000000694C: 20280084
	v_mul_i32_i24_e32 v20, 4, v20                              // 000000006950: 0C282884
	v_add_u32_e32 v20, s56, v20                                // 000000006954: 68282838
	v_add_u32_e32 v21, 1, v20                                  // 000000006958: 682A2881
	v_add_u32_e32 v22, 2, v20                                  // 00000000695C: 682C2882
	v_add_u32_e32 v23, 3, v20                                  // 000000006960: 682E2883
	v_cmp_le_u32_e64 s[38:39], v20, v24                        // 000000006964: D0CB0026 00023114
	v_add_u32_e32 v20, 16, v20                                 // 00000000696C: 68282890
	s_nop 0                                                    // 000000006970: BF800000
	v_cndmask_b32_e64 v48, v25, v48, s[38:39]                  // 000000006974: D1000030 009A6119
	v_cmp_le_u32_e64 s[38:39], v21, v24                        // 00000000697C: D0CB0026 00023115
	v_add_u32_e32 v21, 16, v21                                 // 000000006984: 682A2A90
	s_nop 0                                                    // 000000006988: BF800000
	v_cndmask_b32_e64 v49, v25, v49, s[38:39]                  // 00000000698C: D1000031 009A6319
	v_cmp_le_u32_e64 s[38:39], v22, v24                        // 000000006994: D0CB0026 00023116
	v_add_u32_e32 v22, 16, v22                                 // 00000000699C: 682C2C90
	s_nop 0                                                    // 0000000069A0: BF800000
	v_cndmask_b32_e64 v50, v25, v50, s[38:39]                  // 0000000069A4: D1000032 009A6519
	v_cmp_le_u32_e64 s[38:39], v23, v24                        // 0000000069AC: D0CB0026 00023117
	v_add_u32_e32 v23, 16, v23                                 // 0000000069B4: 682E2E90
	s_nop 0                                                    // 0000000069B8: BF800000
	v_cndmask_b32_e64 v51, v25, v51, s[38:39]                  // 0000000069BC: D1000033 009A6719
	v_cmp_le_u32_e64 s[38:39], v20, v24                        // 0000000069C4: D0CB0026 00023114
	v_add_u32_e32 v20, 16, v20                                 // 0000000069CC: 68282890
	s_nop 0                                                    // 0000000069D0: BF800000
	v_cndmask_b32_e64 v52, v25, v52, s[38:39]                  // 0000000069D4: D1000034 009A6919
	v_cmp_le_u32_e64 s[38:39], v21, v24                        // 0000000069DC: D0CB0026 00023115
	v_add_u32_e32 v21, 16, v21                                 // 0000000069E4: 682A2A90
	s_nop 0                                                    // 0000000069E8: BF800000
	v_cndmask_b32_e64 v53, v25, v53, s[38:39]                  // 0000000069EC: D1000035 009A6B19
	v_cmp_le_u32_e64 s[38:39], v22, v24                        // 0000000069F4: D0CB0026 00023116
	v_add_u32_e32 v22, 16, v22                                 // 0000000069FC: 682C2C90
	s_nop 0                                                    // 000000006A00: BF800000
	v_cndmask_b32_e64 v54, v25, v54, s[38:39]                  // 000000006A04: D1000036 009A6D19
	v_cmp_le_u32_e64 s[38:39], v23, v24                        // 000000006A0C: D0CB0026 00023117
	v_add_u32_e32 v23, 16, v23                                 // 000000006A14: 682E2E90
	s_nop 0                                                    // 000000006A18: BF800000
	v_cndmask_b32_e64 v55, v25, v55, s[38:39]                  // 000000006A1C: D1000037 009A6F19

0000000000006a24 <label_11C9>:
	s_add_u32 s83, s84, s83                                    // 000000006A24: 80535354
	s_nop 0                                                    // 000000006A28: BF800000
	v_mul_u32_u24_dpp v18, v11, v9 row_newbcast:0 row_mask:0xf bank_mask:0xf// 000000006A2C: 102412FA FF01500B
	v_mul_u32_u24_dpp v19, v11, v9 row_newbcast:8 row_mask:0xf bank_mask:0xf// 000000006A34: 102612FA FF01580B
	v_add_u32_e32 v18, v18, v1                                 // 000000006A3C: 68240312
	v_add_u32_e32 v19, v19, v1                                 // 000000006A40: 68260313
	s_mov_b32 m0, s36                                          // 000000006A44: BEFC0024
	v_mov_b32_e32 v22, v16                                     // 000000006A48: 7E2C0310
	v_mov_b32_e32 v23, v16                                     // 000000006A4C: 7E2E0310
	v_pk_mul_f32 v[56:57], v[22:23], v[56:57]                  // 000000006A50: D3B14038 18027116
	v_pk_mul_f32 v[58:59], v[22:23], v[58:59]                  // 000000006A58: D3B1403A 18027516
	v_pk_mul_f32 v[60:61], v[22:23], v[60:61]                  // 000000006A60: D3B1403C 18027916
	v_pk_mul_f32 v[62:63], v[22:23], v[62:63]                  // 000000006A68: D3B1403E 18027D16
	v_pk_mul_f32 v[64:65], v[22:23], v[64:65]                  // 000000006A70: D3B14040 18028116
	v_pk_mul_f32 v[66:67], v[22:23], v[66:67]                  // 000000006A78: D3B14042 18028516
	v_pk_mul_f32 v[68:69], v[22:23], v[68:69]                  // 000000006A80: D3B14044 18028916
	v_pk_mul_f32 v[70:71], v[22:23], v[70:71]                  // 000000006A88: D3B14046 18028D16
	v_pk_mul_f32 v[72:73], v[22:23], v[72:73]                  // 000000006A90: D3B14048 18029116
	v_pk_mul_f32 v[74:75], v[22:23], v[74:75]                  // 000000006A98: D3B1404A 18029516
	v_pk_mul_f32 v[76:77], v[22:23], v[76:77]                  // 000000006AA0: D3B1404C 18029916
	v_pk_mul_f32 v[78:79], v[22:23], v[78:79]                  // 000000006AA8: D3B1404E 18029D16
	v_pk_mul_f32 v[80:81], v[22:23], v[80:81]                  // 000000006AB0: D3B14050 1802A116
	v_pk_mul_f32 v[82:83], v[22:23], v[82:83]                  // 000000006AB8: D3B14052 1802A516
	v_pk_mul_f32 v[84:85], v[22:23], v[84:85]                  // 000000006AC0: D3B14054 1802A916
	v_pk_mul_f32 v[86:87], v[22:23], v[86:87]                  // 000000006AC8: D3B14056 1802AD16
	v_pk_mul_f32 v[88:89], v[22:23], v[88:89]                  // 000000006AD0: D3B14058 1802B116
	v_pk_mul_f32 v[90:91], v[22:23], v[90:91]                  // 000000006AD8: D3B1405A 1802B516
	v_pk_mul_f32 v[92:93], v[22:23], v[92:93]                  // 000000006AE0: D3B1405C 1802B916
	v_pk_mul_f32 v[94:95], v[22:23], v[94:95]                  // 000000006AE8: D3B1405E 1802BD16
	v_pk_mul_f32 v[96:97], v[22:23], v[96:97]                  // 000000006AF0: D3B14060 1802C116
	v_pk_mul_f32 v[98:99], v[22:23], v[98:99]                  // 000000006AF8: D3B14062 1802C516
	v_pk_mul_f32 v[100:101], v[22:23], v[100:101]              // 000000006B00: D3B14064 1802C916
	v_pk_mul_f32 v[102:103], v[22:23], v[102:103]              // 000000006B08: D3B14066 1802CD16
	v_pk_mul_f32 v[104:105], v[22:23], v[104:105]              // 000000006B10: D3B14068 1802D116
	v_pk_mul_f32 v[106:107], v[22:23], v[106:107]              // 000000006B18: D3B1406A 1802D516
	v_pk_mul_f32 v[108:109], v[22:23], v[108:109]              // 000000006B20: D3B1406C 1802D916
	v_pk_mul_f32 v[110:111], v[22:23], v[110:111]              // 000000006B28: D3B1406E 1802DD16
	v_pk_mul_f32 v[112:113], v[22:23], v[112:113]              // 000000006B30: D3B14070 1802E116
	v_pk_mul_f32 v[114:115], v[22:23], v[114:115]              // 000000006B38: D3B14072 1802E516
	v_pk_mul_f32 v[116:117], v[22:23], v[116:117]              // 000000006B40: D3B14074 1802E916
	v_pk_mul_f32 v[118:119], v[22:23], v[118:119]              // 000000006B48: D3B14076 1802ED16
	v_pk_mul_f32 v[120:121], v[22:23], v[120:121]              // 000000006B50: D3B14078 1802F116
	v_pk_mul_f32 v[122:123], v[22:23], v[122:123]              // 000000006B58: D3B1407A 1802F516
	v_pk_mul_f32 v[124:125], v[22:23], v[124:125]              // 000000006B60: D3B1407C 1802F916
	v_pk_mul_f32 v[126:127], v[22:23], v[126:127]              // 000000006B68: D3B1407E 1802FD16
	v_pk_mul_f32 v[128:129], v[22:23], v[128:129]              // 000000006B70: D3B14080 18030116
	v_pk_mul_f32 v[130:131], v[22:23], v[130:131]              // 000000006B78: D3B14082 18030516
	v_pk_mul_f32 v[132:133], v[22:23], v[132:133]              // 000000006B80: D3B14084 18030916
	v_pk_mul_f32 v[134:135], v[22:23], v[134:135]              // 000000006B88: D3B14086 18030D16
	v_pk_mul_f32 v[136:137], v[22:23], v[136:137]              // 000000006B90: D3B14088 18031116
	v_pk_mul_f32 v[138:139], v[22:23], v[138:139]              // 000000006B98: D3B1408A 18031516
	v_pk_mul_f32 v[140:141], v[22:23], v[140:141]              // 000000006BA0: D3B1408C 18031916
	v_pk_mul_f32 v[142:143], v[22:23], v[142:143]              // 000000006BA8: D3B1408E 18031D16
	v_pk_mul_f32 v[144:145], v[22:23], v[144:145]              // 000000006BB0: D3B14090 18032116
	v_pk_mul_f32 v[146:147], v[22:23], v[146:147]              // 000000006BB8: D3B14092 18032516
	v_pk_mul_f32 v[148:149], v[22:23], v[148:149]              // 000000006BC0: D3B14094 18032916
	v_pk_mul_f32 v[150:151], v[22:23], v[150:151]              // 000000006BC8: D3B14096 18032D16
	v_pk_mul_f32 v[152:153], v[22:23], v[152:153]              // 000000006BD0: D3B14098 18033116
	v_pk_mul_f32 v[154:155], v[22:23], v[154:155]              // 000000006BD8: D3B1409A 18033516
	v_accvgpr_read_b32 v20, a144                               // 000000006BE0: D3D84014 18000190
	v_accvgpr_read_b32 v21, a145                               // 000000006BE8: D3D84015 18000191
	v_pk_mul_f32 v[20:21], v[22:23], v[20:21]                  // 000000006BF0: D3B14014 18022916
	v_accvgpr_write_b32 a144, v20                              // 000000006BF8: D3D94090 18000114
	v_accvgpr_write_b32 a145, v21                              // 000000006C00: D3D94091 18000115
	v_accvgpr_read_b32 v20, a146                               // 000000006C08: D3D84014 18000192
	v_accvgpr_read_b32 v21, a147                               // 000000006C10: D3D84015 18000193
	v_pk_mul_f32 v[20:21], v[22:23], v[20:21]                  // 000000006C18: D3B14014 18022916
	v_accvgpr_write_b32 a146, v20                              // 000000006C20: D3D94092 18000114
	v_accvgpr_write_b32 a147, v21                              // 000000006C28: D3D94093 18000115
	v_accvgpr_read_b32 v20, a148                               // 000000006C30: D3D84014 18000194
	v_accvgpr_read_b32 v21, a149                               // 000000006C38: D3D84015 18000195
	v_pk_mul_f32 v[20:21], v[22:23], v[20:21]                  // 000000006C40: D3B14014 18022916
	v_accvgpr_write_b32 a148, v20                              // 000000006C48: D3D94094 18000114
	v_accvgpr_write_b32 a149, v21                              // 000000006C50: D3D94095 18000115
	v_accvgpr_read_b32 v20, a150                               // 000000006C58: D3D84014 18000196
	v_accvgpr_read_b32 v21, a151                               // 000000006C60: D3D84015 18000197
	v_pk_mul_f32 v[20:21], v[22:23], v[20:21]                  // 000000006C68: D3B14014 18022916
	v_accvgpr_write_b32 a150, v20                              // 000000006C70: D3D94096 18000114
	v_accvgpr_write_b32 a151, v21                              // 000000006C78: D3D94097 18000115
	v_accvgpr_read_b32 v20, a152                               // 000000006C80: D3D84014 18000198
	v_accvgpr_read_b32 v21, a153                               // 000000006C88: D3D84015 18000199
	v_pk_mul_f32 v[20:21], v[22:23], v[20:21]                  // 000000006C90: D3B14014 18022916
	v_accvgpr_write_b32 a152, v20                              // 000000006C98: D3D94098 18000114
	v_accvgpr_write_b32 a153, v21                              // 000000006CA0: D3D94099 18000115
	v_accvgpr_read_b32 v20, a154                               // 000000006CA8: D3D84014 1800019A
	v_accvgpr_read_b32 v21, a155                               // 000000006CB0: D3D84015 1800019B
	v_pk_mul_f32 v[20:21], v[22:23], v[20:21]                  // 000000006CB8: D3B14014 18022916
	v_accvgpr_write_b32 a154, v20                              // 000000006CC0: D3D9409A 18000114
	v_accvgpr_write_b32 a155, v21                              // 000000006CC8: D3D9409B 18000115
	v_accvgpr_read_b32 v20, a156                               // 000000006CD0: D3D84014 1800019C
	v_accvgpr_read_b32 v21, a157                               // 000000006CD8: D3D84015 1800019D
	v_pk_mul_f32 v[20:21], v[22:23], v[20:21]                  // 000000006CE0: D3B14014 18022916
	v_accvgpr_write_b32 a156, v20                              // 000000006CE8: D3D9409C 18000114
	v_accvgpr_write_b32 a157, v21                              // 000000006CF0: D3D9409D 18000115
	v_accvgpr_read_b32 v20, a158                               // 000000006CF8: D3D84014 1800019E
	v_accvgpr_read_b32 v21, a159                               // 000000006D00: D3D84015 1800019F
	v_pk_mul_f32 v[20:21], v[22:23], v[20:21]                  // 000000006D08: D3B14014 18022916
	v_accvgpr_write_b32 a158, v20                              // 000000006D10: D3D9409E 18000114
	v_accvgpr_write_b32 a159, v21                              // 000000006D18: D3D9409F 18000115
	v_accvgpr_read_b32 v20, a160                               // 000000006D20: D3D84014 180001A0
	v_accvgpr_read_b32 v21, a161                               // 000000006D28: D3D84015 180001A1
	v_pk_mul_f32 v[20:21], v[22:23], v[20:21]                  // 000000006D30: D3B14014 18022916
	v_accvgpr_write_b32 a160, v20                              // 000000006D38: D3D940A0 18000114
	v_accvgpr_write_b32 a161, v21                              // 000000006D40: D3D940A1 18000115
	v_accvgpr_read_b32 v20, a162                               // 000000006D48: D3D84014 180001A2
	v_accvgpr_read_b32 v21, a163                               // 000000006D50: D3D84015 180001A3
	v_pk_mul_f32 v[20:21], v[22:23], v[20:21]                  // 000000006D58: D3B14014 18022916
	v_accvgpr_write_b32 a162, v20                              // 000000006D60: D3D940A2 18000114
	v_accvgpr_write_b32 a163, v21                              // 000000006D68: D3D940A3 18000115
	v_accvgpr_read_b32 v20, a164                               // 000000006D70: D3D84014 180001A4
	v_accvgpr_read_b32 v21, a165                               // 000000006D78: D3D84015 180001A5
	v_pk_mul_f32 v[20:21], v[22:23], v[20:21]                  // 000000006D80: D3B14014 18022916
	v_accvgpr_write_b32 a164, v20                              // 000000006D88: D3D940A4 18000114
	v_accvgpr_write_b32 a165, v21                              // 000000006D90: D3D940A5 18000115
	v_accvgpr_read_b32 v20, a166                               // 000000006D98: D3D84014 180001A6
	v_accvgpr_read_b32 v21, a167                               // 000000006DA0: D3D84015 180001A7
	v_pk_mul_f32 v[20:21], v[22:23], v[20:21]                  // 000000006DA8: D3B14014 18022916
	v_accvgpr_write_b32 a166, v20                              // 000000006DB0: D3D940A6 18000114
	v_accvgpr_write_b32 a167, v21                              // 000000006DB8: D3D940A7 18000115
	v_accvgpr_read_b32 v20, a168                               // 000000006DC0: D3D84014 180001A8
	v_accvgpr_read_b32 v21, a169                               // 000000006DC8: D3D84015 180001A9
	v_pk_mul_f32 v[20:21], v[22:23], v[20:21]                  // 000000006DD0: D3B14014 18022916
	v_accvgpr_write_b32 a168, v20                              // 000000006DD8: D3D940A8 18000114
	v_accvgpr_write_b32 a169, v21                              // 000000006DE0: D3D940A9 18000115
	v_accvgpr_read_b32 v20, a170                               // 000000006DE8: D3D84014 180001AA
	v_accvgpr_read_b32 v21, a171                               // 000000006DF0: D3D84015 180001AB
	v_pk_mul_f32 v[20:21], v[22:23], v[20:21]                  // 000000006DF8: D3B14014 18022916
	v_accvgpr_write_b32 a170, v20                              // 000000006E00: D3D940AA 18000114
	v_accvgpr_write_b32 a171, v21                              // 000000006E08: D3D940AB 18000115
	s_waitcnt lgkmcnt(0)                                       // 000000006E10: BF8CC07F
	v_mfma_f32_16x16x32_fp8_fp8 v[56:59], a[72:73], v[40:41], v[56:59]// 000000006E14: D3F30038 0CE25148
	v_mfma_f32_16x16x32_fp8_fp8 v[60:63], a[74:75], v[40:41], v[60:63]// 000000006E1C: D3F3003C 0CF2514A
	ds_read_b128 a[104:107], v7 offset:45312                   // 000000006E24: DBFEB100 68000007
	ds_read_b128 a[108:111], v7 offset:46336                   // 000000006E2C: DBFEB500 6C000007
	v_mfma_f32_16x16x32_fp8_fp8 v[64:67], a[76:77], v[40:41], v[64:67]// 000000006E34: D3F30040 0D02514C
	v_mfma_f32_16x16x32_fp8_fp8 v[68:71], a[78:79], v[40:41], v[68:71]// 000000006E3C: D3F30044 0D12514E
	v_mfma_f32_16x16x32_fp8_fp8 v[72:75], a[80:81], v[40:41], v[72:75]// 000000006E44: D3F30048 0D225150
	v_mfma_f32_16x16x32_fp8_fp8 v[76:79], a[82:83], v[40:41], v[76:79]// 000000006E4C: D3F3004C 0D325152
	ds_read_b128 a[112:115], v7 offset:47360                   // 000000006E54: DBFEB900 70000007
	ds_read_b128 a[116:119], v7 offset:48384                   // 000000006E5C: DBFEBD00 74000007
	v_mfma_f32_16x16x32_fp8_fp8 v[80:83], a[84:85], v[40:41], v[80:83]// 000000006E64: D3F30050 0D425154
	v_mfma_f32_16x16x32_fp8_fp8 v[84:87], a[86:87], v[40:41], v[84:87]// 000000006E6C: D3F30054 0D525156
	v_mfma_f32_16x16x32_fp8_fp8 v[88:91], a[88:89], v[40:41], v[88:91]// 000000006E74: D3F30058 0D625158
	v_mfma_f32_16x16x32_fp8_fp8 v[92:95], a[90:91], v[40:41], v[92:95]// 000000006E7C: D3F3005C 0D72515A
	ds_read_b128 a[120:123], v7 offset:49408                   // 000000006E84: DBFEC100 78000007
	ds_read_b128 a[124:127], v7 offset:50432                   // 000000006E8C: DBFEC500 7C000007
	v_mfma_f32_16x16x32_fp8_fp8 v[96:99], a[92:93], v[40:41], v[96:99]// 000000006E94: D3F30060 0D82515C
	v_mfma_f32_16x16x32_fp8_fp8 v[100:103], a[94:95], v[40:41], v[100:103]// 000000006E9C: D3F30064 0D92515E
	v_mfma_f32_16x16x32_fp8_fp8 v[104:107], a[96:97], v[40:41], v[104:107]// 000000006EA4: D3F30068 0DA25160
	v_mfma_f32_16x16x32_fp8_fp8 v[108:111], a[98:99], v[40:41], v[108:111]// 000000006EAC: D3F3006C 0DB25162
	ds_read_b128 a[128:131], v7 offset:51456                   // 000000006EB4: DBFEC900 80000007
	ds_read_b128 a[132:135], v7 offset:52480                   // 000000006EBC: DBFECD00 84000007
	v_mfma_f32_16x16x32_fp8_fp8 v[112:115], a[100:101], v[40:41], v[112:115]// 000000006EC4: D3F30070 0DC25164
	v_mfma_f32_16x16x32_fp8_fp8 v[116:119], a[102:103], v[40:41], v[116:119]// 000000006ECC: D3F30074 0DD25166
	s_waitcnt lgkmcnt(4)                                       // 000000006ED4: BF8CC47F
	v_mfma_f32_16x16x32_fp8_fp8 v[120:123], a[104:105], v[40:41], v[120:123]// 000000006ED8: D3F30078 0DE25168
	v_max3_f32 v24, v48, v49, v48                              // 000000006EE0: D1D30018 04C26330
	v_max3_f32 v24, v50, v51, v24                              // 000000006EE8: D1D30018 04626732
	v_max3_f32 v24, v52, v53, v24                              // 000000006EF0: D1D30018 04626B34
	v_max3_f32 v24, v54, v55, v24                              // 000000006EF8: D1D30018 04626F36
	ds_write_b32 v3, v24 offset:54528                          // 000000006F00: D81AD500 00001803
	v_mfma_f32_16x16x32_fp8_fp8 v[124:127], a[106:107], v[40:41], v[124:127]// 000000006F08: D3F3007C 0DF2516A
	v_mfma_f32_16x16x32_fp8_fp8 v[128:131], a[108:109], v[40:41], v[128:131]// 000000006F10: D3F30080 0E02516C
	v_mfma_f32_16x16x32_fp8_fp8 v[132:135], a[110:111], v[40:41], v[132:135]// 000000006F18: D3F30084 0E12516E
	v_mfma_f32_16x16x32_fp8_fp8 v[136:139], a[112:113], v[40:41], v[136:139]// 000000006F20: D3F30088 0E225170
	v_mfma_f32_16x16x32_fp8_fp8 v[140:143], a[114:115], v[40:41], v[140:143]// 000000006F28: D3F3008C 0E325172
	v_mfma_f32_16x16x32_fp8_fp8 v[144:147], a[116:117], v[40:41], v[144:147]// 000000006F30: D3F30090 0E425174
	v_mfma_f32_16x16x32_fp8_fp8 v[148:151], a[118:119], v[40:41], v[148:151]// 000000006F38: D3F30094 0E525176
	s_waitcnt lgkmcnt(0)                                       // 000000006F40: BF8CC07F
	v_mfma_f32_16x16x32_fp8_fp8 v[152:155], a[120:121], v[40:41], v[152:155]// 000000006F44: D3F30098 0E625178
	s_waitcnt lgkmcnt(0)                                       // 000000006F4C: BF8CC07F
	ds_read_b32 v20, v2 offset:54528                           // 000000006F50: D86CD500 14000002
	ds_read_b32 v21, v2 offset:54592                           // 000000006F58: D86CD540 15000002
	v_mfma_f32_16x16x32_fp8_fp8 a[144:147], a[122:123], v[40:41], a[144:147]// 000000006F60: D3F38090 0E42517A
	ds_read_b32 v22, v2 offset:54656                           // 000000006F68: D86CD580 16000002
	ds_read_b32 v23, v2 offset:54720                           // 000000006F70: D86CD5C0 17000002
	v_mfma_f32_16x16x32_fp8_fp8 a[148:151], a[124:125], v[40:41], a[148:151]// 000000006F78: D3F38094 0E52517C
	v_mfma_f32_16x16x32_fp8_fp8 a[152:155], a[126:127], v[40:41], a[152:155]// 000000006F80: D3F38098 0E62517E
	v_mfma_f32_16x16x32_fp8_fp8 a[156:159], a[128:129], v[40:41], a[156:159]// 000000006F88: D3F3809C 0E725180
	v_mfma_f32_16x16x32_fp8_fp8 a[160:163], a[130:131], v[40:41], a[160:163]// 000000006F90: D3F380A0 0E825182
	v_mfma_f32_16x16x32_fp8_fp8 a[164:167], a[132:133], v[40:41], a[164:167]// 000000006F98: D3F380A4 0E925184
	v_mfma_f32_16x16x32_fp8_fp8 a[168:171], a[134:135], v[40:41], a[168:171]// 000000006FA0: D3F380A8 0EA25186
	s_waitcnt lgkmcnt(0)                                       // 000000006FA8: BF8CC07F
	v_max3_f32 v24, v20, v21, v24                              // 000000006FAC: D1D30018 04622B14
	v_max3_f32 v24, v22, v23, v24                              // 000000006FB4: D1D30018 04622F16
	v_mov_b32_e32 v25, 0xff7fffff                              // 000000006FBC: 7E3202FF FF7FFFFF
	v_cmp_eq_u32_e64 s[38:39], v25, v13                        // 000000006FC4: D0CA0026 00021B19
	v_max_f32_e32 v20, v24, v13                                // 000000006FCC: 16281B18
	v_sub_f32_e32 v17, v13, v20                                // 000000006FD0: 0422290D
	v_cndmask_b32_e64 v17, v17, 0, s[38:39]                    // 000000006FD4: D1000011 00990111
	v_mov_b32_e32 v13, v20                                     // 000000006FDC: 7E1A0314
	v_mul_f32_e32 v21, s5, v20                                 // 000000006FE0: 0A2A2805
	v_mul_f32_e32 v17, s5, v17                                 // 000000006FE4: 0A222205
	v_exp_f32_e32 v17, v17                                     // 000000006FE8: 7E224111
	v_fma_f32 v48, v48, s5, -v21                               // 000000006FEC: D1CB0030 84540B30
	v_fma_f32 v49, v49, s5, -v21                               // 000000006FF4: D1CB0031 84540B31
	v_fma_f32 v50, v50, s5, -v21                               // 000000006FFC: D1CB0032 84540B32
	v_fma_f32 v51, v51, s5, -v21                               // 000000007004: D1CB0033 84540B33
	v_fma_f32 v52, v52, s5, -v21                               // 00000000700C: D1CB0034 84540B34
	v_fma_f32 v53, v53, s5, -v21                               // 000000007014: D1CB0035 84540B35
	v_fma_f32 v54, v54, s5, -v21                               // 00000000701C: D1CB0036 84540B36
	v_fma_f32 v55, v55, s5, -v21                               // 000000007024: D1CB0037 84540B37
	v_exp_f32_e32 v48, v48                                     // 00000000702C: 7E604130
	v_exp_f32_e32 v49, v49                                     // 000000007030: 7E624131
	v_exp_f32_e32 v50, v50                                     // 000000007034: 7E644132
	v_exp_f32_e32 v51, v51                                     // 000000007038: 7E664133
	v_exp_f32_e32 v52, v52                                     // 00000000703C: 7E684134
	v_exp_f32_e32 v53, v53                                     // 000000007040: 7E6A4135
	v_exp_f32_e32 v54, v54                                     // 000000007044: 7E6C4136
	v_exp_f32_e32 v55, v55                                     // 000000007048: 7E6E4137
	v_mul_f32_e32 v15, v17, v15                                // 00000000704C: 0A1E1F11
	v_mov_b32_e32 v22, v48                                     // 000000007050: 7E2C0330
	v_add_f32_e32 v22, v49, v22                                // 000000007054: 022C2D31
	v_add_f32_e32 v22, v50, v22                                // 000000007058: 022C2D32
	v_add_f32_e32 v22, v51, v22                                // 00000000705C: 022C2D33
	v_add_f32_e32 v22, v52, v22                                // 000000007060: 022C2D34
	v_add_f32_e32 v22, v53, v22                                // 000000007064: 022C2D35
	v_add_f32_e32 v22, v54, v22                                // 000000007068: 022C2D36
	v_add_f32_e32 v22, v55, v22                                // 00000000706C: 022C2D37
	v_add_f32_e32 v15, v22, v15                                // 000000007070: 021E1F16
	v_cvt_pk_fp8_f32 v42, v48, v49                             // 000000007074: D2A2002A 00026330
	v_cvt_pk_fp8_f32 v42, v50, v51 op_sel:[0,0,1]              // 00000000707C: D2A2402A 00026732
	v_cvt_pk_fp8_f32 v43, v52, v53                             // 000000007084: D2A2002B 00026B34
	v_cvt_pk_fp8_f32 v43, v54, v55 op_sel:[0,0,1]              // 00000000708C: D2A2402B 00026F36
	s_nop 0                                                    // 000000007094: BF800000
	v_mov_b32_e32 v22, v17                                     // 000000007098: 7E2C0311
	v_mov_b32_e32 v23, v17                                     // 00000000709C: 7E2E0311
	v_pk_mul_f32 v[156:157], v[22:23], v[156:157]              // 0000000070A0: D3B1409C 18033916
	v_pk_mul_f32 v[158:159], v[22:23], v[158:159]              // 0000000070A8: D3B1409E 18033D16
	v_pk_mul_f32 v[160:161], v[22:23], v[160:161]              // 0000000070B0: D3B140A0 18034116
	v_pk_mul_f32 v[162:163], v[22:23], v[162:163]              // 0000000070B8: D3B140A2 18034516
	v_pk_mul_f32 v[164:165], v[22:23], v[164:165]              // 0000000070C0: D3B140A4 18034916
	v_pk_mul_f32 v[166:167], v[22:23], v[166:167]              // 0000000070C8: D3B140A6 18034D16
	v_pk_mul_f32 v[168:169], v[22:23], v[168:169]              // 0000000070D0: D3B140A8 18035116
	v_pk_mul_f32 v[170:171], v[22:23], v[170:171]              // 0000000070D8: D3B140AA 18035516
	v_pk_mul_f32 v[172:173], v[22:23], v[172:173]              // 0000000070E0: D3B140AC 18035916
	v_pk_mul_f32 v[174:175], v[22:23], v[174:175]              // 0000000070E8: D3B140AE 18035D16
	v_pk_mul_f32 v[176:177], v[22:23], v[176:177]              // 0000000070F0: D3B140B0 18036116
	v_pk_mul_f32 v[178:179], v[22:23], v[178:179]              // 0000000070F8: D3B140B2 18036516
	v_pk_mul_f32 v[180:181], v[22:23], v[180:181]              // 000000007100: D3B140B4 18036916
	v_pk_mul_f32 v[182:183], v[22:23], v[182:183]              // 000000007108: D3B140B6 18036D16
	v_pk_mul_f32 v[184:185], v[22:23], v[184:185]              // 000000007110: D3B140B8 18037116
	v_pk_mul_f32 v[186:187], v[22:23], v[186:187]              // 000000007118: D3B140BA 18037516
	v_pk_mul_f32 v[188:189], v[22:23], v[188:189]              // 000000007120: D3B140BC 18037916
	v_pk_mul_f32 v[190:191], v[22:23], v[190:191]              // 000000007128: D3B140BE 18037D16
	v_pk_mul_f32 v[192:193], v[22:23], v[192:193]              // 000000007130: D3B140C0 18038116
	v_pk_mul_f32 v[194:195], v[22:23], v[194:195]              // 000000007138: D3B140C2 18038516
	v_pk_mul_f32 v[196:197], v[22:23], v[196:197]              // 000000007140: D3B140C4 18038916
	v_pk_mul_f32 v[198:199], v[22:23], v[198:199]              // 000000007148: D3B140C6 18038D16
	v_pk_mul_f32 v[200:201], v[22:23], v[200:201]              // 000000007150: D3B140C8 18039116
	v_pk_mul_f32 v[202:203], v[22:23], v[202:203]              // 000000007158: D3B140CA 18039516
	v_pk_mul_f32 v[204:205], v[22:23], v[204:205]              // 000000007160: D3B140CC 18039916
	v_pk_mul_f32 v[206:207], v[22:23], v[206:207]              // 000000007168: D3B140CE 18039D16
	v_pk_mul_f32 v[208:209], v[22:23], v[208:209]              // 000000007170: D3B140D0 1803A116
	v_pk_mul_f32 v[210:211], v[22:23], v[210:211]              // 000000007178: D3B140D2 1803A516
	v_pk_mul_f32 v[212:213], v[22:23], v[212:213]              // 000000007180: D3B140D4 1803A916
	v_pk_mul_f32 v[214:215], v[22:23], v[214:215]              // 000000007188: D3B140D6 1803AD16
	v_pk_mul_f32 v[216:217], v[22:23], v[216:217]              // 000000007190: D3B140D8 1803B116
	v_pk_mul_f32 v[218:219], v[22:23], v[218:219]              // 000000007198: D3B140DA 1803B516
	v_pk_mul_f32 v[220:221], v[22:23], v[220:221]              // 0000000071A0: D3B140DC 1803B916
	v_pk_mul_f32 v[222:223], v[22:23], v[222:223]              // 0000000071A8: D3B140DE 1803BD16
	v_pk_mul_f32 v[224:225], v[22:23], v[224:225]              // 0000000071B0: D3B140E0 1803C116
	v_pk_mul_f32 v[226:227], v[22:23], v[226:227]              // 0000000071B8: D3B140E2 1803C516
	v_pk_mul_f32 v[228:229], v[22:23], v[228:229]              // 0000000071C0: D3B140E4 1803C916
	v_pk_mul_f32 v[230:231], v[22:23], v[230:231]              // 0000000071C8: D3B140E6 1803CD16
	v_pk_mul_f32 v[232:233], v[22:23], v[232:233]              // 0000000071D0: D3B140E8 1803D116
	v_pk_mul_f32 v[234:235], v[22:23], v[234:235]              // 0000000071D8: D3B140EA 1803D516
	v_pk_mul_f32 v[236:237], v[22:23], v[236:237]              // 0000000071E0: D3B140EC 1803D916
	v_pk_mul_f32 v[238:239], v[22:23], v[238:239]              // 0000000071E8: D3B140EE 1803DD16
	v_pk_mul_f32 v[240:241], v[22:23], v[240:241]              // 0000000071F0: D3B140F0 1803E116
	v_pk_mul_f32 v[242:243], v[22:23], v[242:243]              // 0000000071F8: D3B140F2 1803E516
	v_pk_mul_f32 v[244:245], v[22:23], v[244:245]              // 000000007200: D3B140F4 1803E916
	v_pk_mul_f32 v[246:247], v[22:23], v[246:247]              // 000000007208: D3B140F6 1803ED16
	v_pk_mul_f32 v[248:249], v[22:23], v[248:249]              // 000000007210: D3B140F8 1803F116
	v_pk_mul_f32 v[250:251], v[22:23], v[250:251]              // 000000007218: D3B140FA 1803F516
	v_pk_mul_f32 v[252:253], v[22:23], v[252:253]              // 000000007220: D3B140FC 1803F916
	v_pk_mul_f32 v[254:255], v[22:23], v[254:255]              // 000000007228: D3B140FE 1803FD16
	v_accvgpr_read_b32 v20, a172                               // 000000007230: D3D84014 180001AC
	v_accvgpr_read_b32 v21, a173                               // 000000007238: D3D84015 180001AD
	v_pk_mul_f32 v[20:21], v[22:23], v[20:21]                  // 000000007240: D3B14014 18022916
	v_accvgpr_write_b32 a172, v20                              // 000000007248: D3D940AC 18000114
	v_accvgpr_write_b32 a173, v21                              // 000000007250: D3D940AD 18000115
	v_accvgpr_read_b32 v20, a174                               // 000000007258: D3D84014 180001AE
	v_accvgpr_read_b32 v21, a175                               // 000000007260: D3D84015 180001AF
	v_pk_mul_f32 v[20:21], v[22:23], v[20:21]                  // 000000007268: D3B14014 18022916
	v_accvgpr_write_b32 a174, v20                              // 000000007270: D3D940AE 18000114
	v_accvgpr_write_b32 a175, v21                              // 000000007278: D3D940AF 18000115
	v_accvgpr_read_b32 v20, a176                               // 000000007280: D3D84014 180001B0
	v_accvgpr_read_b32 v21, a177                               // 000000007288: D3D84015 180001B1
	v_pk_mul_f32 v[20:21], v[22:23], v[20:21]                  // 000000007290: D3B14014 18022916
	v_accvgpr_write_b32 a176, v20                              // 000000007298: D3D940B0 18000114
	v_accvgpr_write_b32 a177, v21                              // 0000000072A0: D3D940B1 18000115
	v_accvgpr_read_b32 v20, a178                               // 0000000072A8: D3D84014 180001B2
	v_accvgpr_read_b32 v21, a179                               // 0000000072B0: D3D84015 180001B3
	v_pk_mul_f32 v[20:21], v[22:23], v[20:21]                  // 0000000072B8: D3B14014 18022916
	v_accvgpr_write_b32 a178, v20                              // 0000000072C0: D3D940B2 18000114
	v_accvgpr_write_b32 a179, v21                              // 0000000072C8: D3D940B3 18000115
	v_accvgpr_read_b32 v20, a180                               // 0000000072D0: D3D84014 180001B4
	v_accvgpr_read_b32 v21, a181                               // 0000000072D8: D3D84015 180001B5
	v_pk_mul_f32 v[20:21], v[22:23], v[20:21]                  // 0000000072E0: D3B14014 18022916
	v_accvgpr_write_b32 a180, v20                              // 0000000072E8: D3D940B4 18000114
	v_accvgpr_write_b32 a181, v21                              // 0000000072F0: D3D940B5 18000115
	v_accvgpr_read_b32 v20, a182                               // 0000000072F8: D3D84014 180001B6
	v_accvgpr_read_b32 v21, a183                               // 000000007300: D3D84015 180001B7
	v_pk_mul_f32 v[20:21], v[22:23], v[20:21]                  // 000000007308: D3B14014 18022916
	v_accvgpr_write_b32 a182, v20                              // 000000007310: D3D940B6 18000114
	v_accvgpr_write_b32 a183, v21                              // 000000007318: D3D940B7 18000115
	v_accvgpr_read_b32 v20, a184                               // 000000007320: D3D84014 180001B8
	v_accvgpr_read_b32 v21, a185                               // 000000007328: D3D84015 180001B9
	v_pk_mul_f32 v[20:21], v[22:23], v[20:21]                  // 000000007330: D3B14014 18022916
	v_accvgpr_write_b32 a184, v20                              // 000000007338: D3D940B8 18000114
	v_accvgpr_write_b32 a185, v21                              // 000000007340: D3D940B9 18000115
	v_accvgpr_read_b32 v20, a186                               // 000000007348: D3D84014 180001BA
	v_accvgpr_read_b32 v21, a187                               // 000000007350: D3D84015 180001BB
	v_pk_mul_f32 v[20:21], v[22:23], v[20:21]                  // 000000007358: D3B14014 18022916
	v_accvgpr_write_b32 a186, v20                              // 000000007360: D3D940BA 18000114
	v_accvgpr_write_b32 a187, v21                              // 000000007368: D3D940BB 18000115
	v_accvgpr_read_b32 v20, a188                               // 000000007370: D3D84014 180001BC
	v_accvgpr_read_b32 v21, a189                               // 000000007378: D3D84015 180001BD
	v_pk_mul_f32 v[20:21], v[22:23], v[20:21]                  // 000000007380: D3B14014 18022916
	v_accvgpr_write_b32 a188, v20                              // 000000007388: D3D940BC 18000114
	v_accvgpr_write_b32 a189, v21                              // 000000007390: D3D940BD 18000115
	v_accvgpr_read_b32 v20, a190                               // 000000007398: D3D84014 180001BE
	v_accvgpr_read_b32 v21, a191                               // 0000000073A0: D3D84015 180001BF
	v_pk_mul_f32 v[20:21], v[22:23], v[20:21]                  // 0000000073A8: D3B14014 18022916
	v_accvgpr_write_b32 a190, v20                              // 0000000073B0: D3D940BE 18000114
	v_accvgpr_write_b32 a191, v21                              // 0000000073B8: D3D940BF 18000115
	v_accvgpr_read_b32 v20, a192                               // 0000000073C0: D3D84014 180001C0
	v_accvgpr_read_b32 v21, a193                               // 0000000073C8: D3D84015 180001C1
	v_pk_mul_f32 v[20:21], v[22:23], v[20:21]                  // 0000000073D0: D3B14014 18022916
	v_accvgpr_write_b32 a192, v20                              // 0000000073D8: D3D940C0 18000114
	v_accvgpr_write_b32 a193, v21                              // 0000000073E0: D3D940C1 18000115
	v_accvgpr_read_b32 v20, a194                               // 0000000073E8: D3D84014 180001C2
	v_accvgpr_read_b32 v21, a195                               // 0000000073F0: D3D84015 180001C3
	v_pk_mul_f32 v[20:21], v[22:23], v[20:21]                  // 0000000073F8: D3B14014 18022916
	v_accvgpr_write_b32 a194, v20                              // 000000007400: D3D940C2 18000114
	v_accvgpr_write_b32 a195, v21                              // 000000007408: D3D940C3 18000115
	v_accvgpr_read_b32 v20, a196                               // 000000007410: D3D84014 180001C4
	v_accvgpr_read_b32 v21, a197                               // 000000007418: D3D84015 180001C5
	v_pk_mul_f32 v[20:21], v[22:23], v[20:21]                  // 000000007420: D3B14014 18022916
	v_accvgpr_write_b32 a196, v20                              // 000000007428: D3D940C4 18000114
	v_accvgpr_write_b32 a197, v21                              // 000000007430: D3D940C5 18000115
	v_accvgpr_read_b32 v20, a198                               // 000000007438: D3D84014 180001C6
	v_accvgpr_read_b32 v21, a199                               // 000000007440: D3D84015 180001C7
	v_pk_mul_f32 v[20:21], v[22:23], v[20:21]                  // 000000007448: D3B14014 18022916
	v_accvgpr_write_b32 a198, v20                              // 000000007450: D3D940C6 18000114
	v_accvgpr_write_b32 a199, v21                              // 000000007458: D3D940C7 18000115
	s_waitcnt vmcnt(18) lgkmcnt(0)                             // 000000007460: BF8C4072
	s_barrier                                                  // 000000007464: BF8A0000
	v_mfma_f32_16x16x32_fp8_fp8 v[156:159], a[72:73], v[42:43], v[156:159]// 000000007468: D3F3009C 0E725548
	ds_read_b32 v20, v5 offset:18560                           // 000000007470: D86C4880 14000005
	ds_read_b32 v21, v5 offset:23200                           // 000000007478: D86C5AA0 15000005
	ds_read_b32 v22, v5 offset:27840                           // 000000007480: D86C6CC0 16000005
	ds_read_b32 v23, v5 offset:32480                           // 000000007488: D86C7EE0 17000005
	v_mfma_f32_16x16x32_fp8_fp8 v[160:163], a[74:75], v[42:43], v[160:163]// 000000007490: D3F300A0 0E82554A
	v_mfma_f32_16x16x32_fp8_fp8 v[164:167], a[76:77], v[42:43], v[164:167]// 000000007498: D3F300A4 0E92554C
	ds_read_b32 v24, v5 offset:18688                           // 0000000074A0: D86C4900 18000005
	ds_read_b32 v25, v5 offset:23328                           // 0000000074A8: D86C5B20 19000005
	ds_read_b32 v26, v5 offset:27968                           // 0000000074B0: D86C6D40 1A000005
	ds_read_b32 v27, v5 offset:32608                           // 0000000074B8: D86C7F60 1B000005
	v_mfma_f32_16x16x32_fp8_fp8 v[168:171], a[78:79], v[42:43], v[168:171]// 0000000074C0: D3F300A8 0EA2554E
	v_mfma_f32_16x16x32_fp8_fp8 v[172:175], a[80:81], v[42:43], v[172:175]// 0000000074C8: D3F300AC 0EB25550
	ds_read_b128 a[72:75], v4 offset:18560                     // 0000000074D0: DBFE4880 48000004
	ds_read_b128 a[76:79], v4 offset:18816                     // 0000000074D8: DBFE4980 4C000004
	v_mfma_f32_16x16x32_fp8_fp8 v[176:179], a[82:83], v[42:43], v[176:179]// 0000000074E0: D3F300B0 0EC25552
	v_mfma_f32_16x16x32_fp8_fp8 v[180:183], a[84:85], v[42:43], v[180:183]// 0000000074E8: D3F300B4 0ED25554
	s_waitcnt lgkmcnt(2)                                       // 0000000074F0: BF8CC27F
	v_perm_b32 v32, v22, v20, s52                              // 0000000074F4: D1ED0020 00D22916
	v_perm_b32 v33, v22, v20, s53                              // 0000000074FC: D1ED0021 00D62916
	v_perm_b32 v34, v23, v21, s52                              // 000000007504: D1ED0022 00D22B17
	v_perm_b32 v35, v23, v21, s53                              // 00000000750C: D1ED0023 00D62B17
	v_perm_b32 v28, v34, v32, s54                              // 000000007514: D1ED001C 00DA4122
	v_perm_b32 v36, v34, v32, s55                              // 00000000751C: D1ED0024 00DE4122
	v_perm_b32 v30, v35, v33, s54                              // 000000007524: D1ED001E 00DA4323
	v_perm_b32 v38, v35, v33, s55                              // 00000000752C: D1ED0026 00DE4323
	v_mfma_f32_16x16x32_fp8_fp8 v[184:187], a[86:87], v[42:43], v[184:187]// 000000007534: D3F300B8 0EE25556
	v_mfma_f32_16x16x32_fp8_fp8 v[188:191], a[88:89], v[42:43], v[188:191]// 00000000753C: D3F300BC 0EF25558
	v_perm_b32 v32, v26, v24, s52                              // 000000007544: D1ED0020 00D2311A
	v_perm_b32 v33, v26, v24, s53                              // 00000000754C: D1ED0021 00D6311A
	v_perm_b32 v34, v27, v25, s52                              // 000000007554: D1ED0022 00D2331B
	v_perm_b32 v35, v27, v25, s53                              // 00000000755C: D1ED0023 00D6331B
	v_perm_b32 v29, v34, v32, s54                              // 000000007564: D1ED001D 00DA4122
	v_perm_b32 v37, v34, v32, s55                              // 00000000756C: D1ED0025 00DE4122
	v_perm_b32 v31, v35, v33, s54                              // 000000007574: D1ED001F 00DA4323
	v_perm_b32 v39, v35, v33, s55                              // 00000000757C: D1ED0027 00DE4323
	v_mfma_f32_16x16x32_fp8_fp8 v[192:195], a[90:91], v[42:43], v[192:195]// 000000007584: D3F300C0 0F02555A
	v_mfma_f32_16x16x32_fp8_fp8 v[196:199], a[92:93], v[42:43], v[196:199]// 00000000758C: D3F300C4 0F12555C
	ds_write_b128 v6, v[28:31] offset:37120                    // 000000007594: D9BE9100 00001C06
	v_mfma_f32_16x16x32_fp8_fp8 v[200:203], a[94:95], v[42:43], v[200:203]// 00000000759C: D3F300C8 0F22555E
	v_mfma_f32_16x16x32_fp8_fp8 v[204:207], a[96:97], v[42:43], v[204:207]// 0000000075A4: D3F300CC 0F325560
	ds_write_b128 v6, v[36:39] offset:38144                    // 0000000075AC: D9BE9500 00002406
	v_mfma_f32_16x16x32_fp8_fp8 v[208:211], a[98:99], v[42:43], v[208:211]// 0000000075B4: D3F300D0 0F425562
	v_mfma_f32_16x16x32_fp8_fp8 v[212:215], a[100:101], v[42:43], v[212:215]// 0000000075BC: D3F300D4 0F525564
	v_mfma_f32_16x16x32_fp8_fp8 v[216:219], a[102:103], v[42:43], v[216:219]// 0000000075C4: D3F300D8 0F625566
	v_mfma_f32_16x16x32_fp8_fp8 v[220:223], a[104:105], v[42:43], v[220:223]// 0000000075CC: D3F300DC 0F725568
	ds_read_b32 v20, v5 offset:19584                           // 0000000075D4: D86C4C80 14000005
	ds_read_b32 v21, v5 offset:24224                           // 0000000075DC: D86C5EA0 15000005
	ds_read_b32 v22, v5 offset:28864                           // 0000000075E4: D86C70C0 16000005
	ds_read_b32 v23, v5 offset:33504                           // 0000000075EC: D86C82E0 17000005
	v_mfma_f32_16x16x32_fp8_fp8 v[224:227], a[106:107], v[42:43], v[224:227]// 0000000075F4: D3F300E0 0F82556A
	v_mfma_f32_16x16x32_fp8_fp8 v[228:231], a[108:109], v[42:43], v[228:231]// 0000000075FC: D3F300E4 0F92556C
	ds_read_b32 v24, v5 offset:19712                           // 000000007604: D86C4D00 18000005
	ds_read_b32 v25, v5 offset:24352                           // 00000000760C: D86C5F20 19000005
	ds_read_b32 v26, v5 offset:28992                           // 000000007614: D86C7140 1A000005
	ds_read_b32 v27, v5 offset:33632                           // 00000000761C: D86C8360 1B000005
	v_mfma_f32_16x16x32_fp8_fp8 v[232:235], a[110:111], v[42:43], v[232:235]// 000000007624: D3F300E8 0FA2556E
	v_mfma_f32_16x16x32_fp8_fp8 v[236:239], a[112:113], v[42:43], v[236:239]// 00000000762C: D3F300EC 0FB25570
	ds_read_b128 a[80:83], v4 offset:19072                     // 000000007634: DBFE4A80 50000004
	ds_read_b128 a[84:87], v4 offset:19328                     // 00000000763C: DBFE4B80 54000004
	v_mfma_f32_16x16x32_fp8_fp8 v[240:243], a[114:115], v[42:43], v[240:243]// 000000007644: D3F300F0 0FC25572
	v_mfma_f32_16x16x32_fp8_fp8 v[244:247], a[116:117], v[42:43], v[244:247]// 00000000764C: D3F300F4 0FD25574
	v_mfma_f32_16x16x32_fp8_fp8 v[248:251], a[118:119], v[42:43], v[248:251]// 000000007654: D3F300F8 0FE25576
	v_mfma_f32_16x16x32_fp8_fp8 v[252:255], a[120:121], v[42:43], v[252:255]// 00000000765C: D3F300FC 0FF25578
	ds_read_b128 a[88:91], v4 offset:19584                     // 000000007664: DBFE4C80 58000004
	ds_read_b128 a[92:95], v4 offset:19840                     // 00000000766C: DBFE4D80 5C000004
	v_mfma_f32_16x16x32_fp8_fp8 a[172:175], a[122:123], v[42:43], a[172:175]// 000000007674: D3F380AC 0EB2557A
	v_mfma_f32_16x16x32_fp8_fp8 a[176:179], a[124:125], v[42:43], a[176:179]// 00000000767C: D3F380B0 0EC2557C
	v_mfma_f32_16x16x32_fp8_fp8 a[180:183], a[126:127], v[42:43], a[180:183]// 000000007684: D3F380B4 0ED2557E
	v_mfma_f32_16x16x32_fp8_fp8 a[184:187], a[128:129], v[42:43], a[184:187]// 00000000768C: D3F380B8 0EE25580
	ds_read_b128 a[96:99], v4 offset:20096                     // 000000007694: DBFE4E80 60000004
	ds_read_b128 a[100:103], v4 offset:20352                   // 00000000769C: DBFE4F80 64000004
	v_mfma_f32_16x16x32_fp8_fp8 a[188:191], a[130:131], v[42:43], a[188:191]// 0000000076A4: D3F380BC 0EF25582
	v_mfma_f32_16x16x32_fp8_fp8 a[192:195], a[132:133], v[42:43], a[192:195]// 0000000076AC: D3F380C0 0F025584
	v_mfma_f32_16x16x32_fp8_fp8 a[196:199], a[134:135], v[42:43], a[196:199]// 0000000076B4: D3F380C4 0F125586
	s_nop 0                                                    // 0000000076BC: BF800000
	s_addk_i32 s70, 0x1                                        // 0000000076C0: B7460001
	s_cmp_lt_i32 s70, s71                                      // 0000000076C4: BF044746
	s_cbranch_scc0 label_0FD6                                  // 0000000076C8: BF84FAE3
	s_waitcnt lgkmcnt(4)                                       // 0000000076CC: BF8CC47F
	v_mfma_f32_16x16x32_fp8_fp8 v[40:43], a[72:73], a[0:1], 0  // 0000000076D0: D3F30028 1A020148
	buffer_load_dword v11, v8, s[24:27], 0 offen               // 0000000076D8: E0501000 80060B08
	v_mfma_f32_16x16x32_fp8_fp8 v[40:43], a[74:75], a[2:3], v[40:43]// 0000000076E0: D3F30028 1CA2054A
	ds_read_b128 a[104:107], v4 offset:20608                   // 0000000076E8: DBFE5080 68000004
	ds_read_b128 a[108:111], v4 offset:18688                   // 0000000076F0: DBFE4900 6C000004
	v_mfma_f32_16x16x32_fp8_fp8 v[40:43], a[76:77], a[4:5], v[40:43]// 0000000076F8: D3F30028 1CA2094C
	v_mfma_f32_16x16x32_fp8_fp8 v[40:43], a[78:79], a[6:7], v[40:43]// 000000007700: D3F30028 1CA20D4E
	v_mfma_f32_16x16x32_fp8_fp8 v[40:43], a[80:81], a[8:9], v[40:43]// 000000007708: D3F30028 1CA21150
	v_mfma_f32_16x16x32_fp8_fp8 v[40:43], a[82:83], a[10:11], v[40:43]// 000000007710: D3F30028 1CA21552
	ds_read_b128 a[112:115], v4 offset:18944                   // 000000007718: DBFE4A00 70000004
	ds_read_b128 a[116:119], v4 offset:19200                   // 000000007720: DBFE4B00 74000004
	v_mfma_f32_16x16x32_fp8_fp8 v[40:43], a[84:85], a[12:13], v[40:43]// 000000007728: D3F30028 1CA21954
	v_mfma_f32_16x16x32_fp8_fp8 v[40:43], a[86:87], a[14:15], v[40:43]// 000000007730: D3F30028 1CA21D56
	s_waitcnt lgkmcnt(4)                                       // 000000007738: BF8CC47F
	v_mfma_f32_16x16x32_fp8_fp8 v[40:43], a[88:89], a[16:17], v[40:43]// 00000000773C: D3F30028 1CA22158
	v_mfma_f32_16x16x32_fp8_fp8 v[40:43], a[90:91], a[18:19], v[40:43]// 000000007744: D3F30028 1CA2255A
	ds_read_b128 a[120:123], v4 offset:19456                   // 00000000774C: DBFE4C00 78000004
	ds_read_b128 a[124:127], v4 offset:19712                   // 000000007754: DBFE4D00 7C000004
	v_mfma_f32_16x16x32_fp8_fp8 v[40:43], a[92:93], a[20:21], v[40:43]// 00000000775C: D3F30028 1CA2295C
	v_mfma_f32_16x16x32_fp8_fp8 v[40:43], a[94:95], a[22:23], v[40:43]// 000000007764: D3F30028 1CA22D5E
	v_mfma_f32_16x16x32_fp8_fp8 v[40:43], a[96:97], a[24:25], v[40:43]// 00000000776C: D3F30028 1CA23160
	v_mfma_f32_16x16x32_fp8_fp8 v[40:43], a[98:99], a[26:27], v[40:43]// 000000007774: D3F30028 1CA23562
	ds_read_b128 a[128:131], v4 offset:19968                   // 00000000777C: DBFE4E00 80000004
	ds_read_b128 a[132:135], v4 offset:20224                   // 000000007784: DBFE4F00 84000004
	v_mfma_f32_16x16x32_fp8_fp8 v[40:43], a[100:101], a[28:29], v[40:43]// 00000000778C: D3F30028 1CA23964
	v_mfma_f32_16x16x32_fp8_fp8 v[40:43], a[102:103], a[30:31], v[40:43]// 000000007794: D3F30028 1CA23D66
	s_waitcnt lgkmcnt(4)                                       // 00000000779C: BF8CC47F
	s_barrier                                                  // 0000000077A0: BF8A0000
	v_mfma_f32_16x16x32_fp8_fp8 v[40:43], a[104:105], a[32:33], v[40:43]// 0000000077A4: D3F30028 1CA24168
	v_mfma_f32_16x16x32_fp8_fp8 v[40:43], a[106:107], a[34:35], v[40:43]// 0000000077AC: D3F30028 1CA2456A
	ds_read_b128 a[136:139], v4 offset:20480                   // 0000000077B4: DBFE5000 88000004
	ds_read_b128 a[140:143], v4 offset:20736                   // 0000000077BC: DBFE5100 8C000004
	v_mfma_f32_16x16x32_fp8_fp8 v[44:47], a[108:109], a[0:1], 0// 0000000077C4: D3F3002C 1A02016C
	buffer_load_dword v18, s[20:23], 0 offen lds               // 0000000077CC: E0511000 80050012
	s_add_u32 m0, 0, s37                                       // 0000000077D4: 807C2580
	v_mfma_f32_16x16x32_fp8_fp8 v[44:47], a[110:111], a[2:3], v[44:47]// 0000000077D8: D3F3002C 1CB2056E
	v_perm_b32 v32, v22, v20, s52                              // 0000000077E0: D1ED0020 00D22916
	v_perm_b32 v33, v22, v20, s53                              // 0000000077E8: D1ED0021 00D62916
	v_perm_b32 v34, v23, v21, s52                              // 0000000077F0: D1ED0022 00D22B17
	v_perm_b32 v35, v23, v21, s53                              // 0000000077F8: D1ED0023 00D62B17
	v_perm_b32 v28, v34, v32, s54                              // 000000007800: D1ED001C 00DA4122
	v_perm_b32 v36, v34, v32, s55                              // 000000007808: D1ED0024 00DE4122
	v_perm_b32 v30, v35, v33, s54                              // 000000007810: D1ED001E 00DA4323
	v_perm_b32 v38, v35, v33, s55                              // 000000007818: D1ED0026 00DE4323
	v_mfma_f32_16x16x32_fp8_fp8 v[44:47], a[112:113], a[4:5], v[44:47]// 000000007820: D3F3002C 1CB20970
	buffer_load_dword v19, s[20:23], 0 offen lds               // 000000007828: E0511000 80050013
	s_add_u32 m0, 0xc0, s36                                    // 000000007830: 807C24FF 000000C0
	v_mfma_f32_16x16x32_fp8_fp8 v[44:47], a[114:115], a[6:7], v[44:47]// 000000007838: D3F3002C 1CB20D72
	v_perm_b32 v32, v26, v24, s52                              // 000000007840: D1ED0020 00D2311A
	v_perm_b32 v33, v26, v24, s53                              // 000000007848: D1ED0021 00D6311A
	v_perm_b32 v34, v27, v25, s52                              // 000000007850: D1ED0022 00D2331B
	v_perm_b32 v35, v27, v25, s53                              // 000000007858: D1ED0023 00D6331B
	v_perm_b32 v29, v34, v32, s54                              // 000000007860: D1ED001D 00DA4122
	v_perm_b32 v37, v34, v32, s55                              // 000000007868: D1ED0025 00DE4122
	v_perm_b32 v31, v35, v33, s54                              // 000000007870: D1ED001F 00DA4323
	v_perm_b32 v39, v35, v33, s55                              // 000000007878: D1ED0027 00DE4323
	v_mfma_f32_16x16x32_fp8_fp8 v[44:47], a[116:117], a[8:9], v[44:47]// 000000007880: D3F3002C 1CB21174
	buffer_load_dword v18, s[20:23], 0 offen offset:64 lds     // 000000007888: E0511040 80050012
	s_add_u32 m0, 0xc0, s37                                    // 000000007890: 807C25FF 000000C0
	v_mfma_f32_16x16x32_fp8_fp8 v[44:47], a[118:119], a[10:11], v[44:47]// 000000007898: D3F3002C 1CB21576
	ds_write_b128 v6, v[28:31] offset:45312                    // 0000000078A0: D9BEB100 00001C06
	s_waitcnt lgkmcnt(1)                                       // 0000000078A8: BF8CC17F
	v_mfma_f32_16x16x32_fp8_fp8 v[44:47], a[120:121], a[12:13], v[44:47]// 0000000078AC: D3F3002C 1CB21978
	buffer_load_dword v19, s[20:23], 0 offen offset:64 lds     // 0000000078B4: E0511040 80050013
	s_add_u32 m0, 0x180, s36                                   // 0000000078BC: 807C24FF 00000180
	v_mfma_f32_16x16x32_fp8_fp8 v[44:47], a[122:123], a[14:15], v[44:47]// 0000000078C4: D3F3002C 1CB21D7A
	ds_write_b128 v6, v[36:39] offset:46336                    // 0000000078CC: D9BEB500 00002406
	v_mfma_f32_16x16x32_fp8_fp8 v[44:47], a[124:125], a[16:17], v[44:47]// 0000000078D4: D3F3002C 1CB2217C
	buffer_load_dword v18, s[20:23], 0 offen offset:128 lds    // 0000000078DC: E0511080 80050012
	s_add_u32 m0, 0x180, s37                                   // 0000000078E4: 807C25FF 00000180
	v_mfma_f32_16x16x32_fp8_fp8 v[44:47], a[126:127], a[18:19], v[44:47]// 0000000078EC: D3F3002C 1CB2257E
	v_mfma_f32_16x16x32_fp8_fp8 v[44:47], a[128:129], a[20:21], v[44:47]// 0000000078F4: D3F3002C 1CB22980
	buffer_load_dword v19, s[20:23], 0 offen offset:128 lds    // 0000000078FC: E0511080 80050013
	s_add_u32 m0, 0x240, s36                                   // 000000007904: 807C24FF 00000240
	v_mfma_f32_16x16x32_fp8_fp8 v[44:47], a[130:131], a[22:23], v[44:47]// 00000000790C: D3F3002C 1CB22D82
	v_mfma_f32_16x16x32_fp8_fp8 v[44:47], a[132:133], a[24:25], v[44:47]// 000000007914: D3F3002C 1CB23184
	buffer_load_dword v18, s[20:23], 0 offen offset:192 lds    // 00000000791C: E05110C0 80050012
	s_add_u32 m0, 0x240, s37                                   // 000000007924: 807C25FF 00000240
	v_mfma_f32_16x16x32_fp8_fp8 v[44:47], a[134:135], a[26:27], v[44:47]// 00000000792C: D3F3002C 1CB23586
	v_mfma_f32_16x16x32_fp8_fp8 v[44:47], a[136:137], a[28:29], v[44:47]// 000000007934: D3F3002C 1CB23988
	buffer_load_dword v19, s[20:23], 0 offen offset:192 lds    // 00000000793C: E05110C0 80050013
	s_add_u32 m0, 0x300, s36                                   // 000000007944: 807C24FF 00000300
	v_mfma_f32_16x16x32_fp8_fp8 v[44:47], a[138:139], a[30:31], v[44:47]// 00000000794C: D3F3002C 1CB23D8A
	v_mfma_f32_16x16x32_fp8_fp8 v[44:47], a[140:141], a[32:33], v[44:47]// 000000007954: D3F3002C 1CB2418C
	buffer_load_dword v18, s[20:23], 0 offen offset:256 lds    // 00000000795C: E0511100 80050012
	s_add_u32 m0, 0x300, s37                                   // 000000007964: 807C25FF 00000300
	v_mfma_f32_16x16x32_fp8_fp8 v[44:47], a[142:143], a[34:35], v[44:47]// 00000000796C: D3F3002C 1CB2458E
	v_add_u32_e32 v8, s73, v8                                  // 000000007974: 68101049
	s_cmp_le_i32 s83, s82                                      // 000000007978: BF055253
	s_cbranch_scc1 label_15DA                                  // 00000000797C: BF85003A
	v_mov_b32_e32 v25, 0xff800000                              // 000000007980: 7E3202FF FF800000
	v_mov_b32_e32 v24, s82                                     // 000000007988: 7E300252
	s_sub_u32 s56, s83, 31                                     // 00000000798C: 80B89F53
	v_lshrrev_b32_e32 v20, 4, v0                               // 000000007990: 20280084
	v_mul_i32_i24_e32 v20, 4, v20                              // 000000007994: 0C282884
	v_add_u32_e32 v20, s56, v20                                // 000000007998: 68282838
	v_add_u32_e32 v21, 1, v20                                  // 00000000799C: 682A2881
	v_add_u32_e32 v22, 2, v20                                  // 0000000079A0: 682C2882
	v_add_u32_e32 v23, 3, v20                                  // 0000000079A4: 682E2883
	v_cmp_le_u32_e64 s[38:39], v20, v24                        // 0000000079A8: D0CB0026 00023114
	v_add_u32_e32 v20, 16, v20                                 // 0000000079B0: 68282890
	s_nop 0                                                    // 0000000079B4: BF800000
	v_cndmask_b32_e64 v40, v25, v40, s[38:39]                  // 0000000079B8: D1000028 009A5119
	v_cmp_le_u32_e64 s[38:39], v21, v24                        // 0000000079C0: D0CB0026 00023115
	v_add_u32_e32 v21, 16, v21                                 // 0000000079C8: 682A2A90
	s_nop 0                                                    // 0000000079CC: BF800000
	v_cndmask_b32_e64 v41, v25, v41, s[38:39]                  // 0000000079D0: D1000029 009A5319
	v_cmp_le_u32_e64 s[38:39], v22, v24                        // 0000000079D8: D0CB0026 00023116
	v_add_u32_e32 v22, 16, v22                                 // 0000000079E0: 682C2C90
	s_nop 0                                                    // 0000000079E4: BF800000
	v_cndmask_b32_e64 v42, v25, v42, s[38:39]                  // 0000000079E8: D100002A 009A5519
	v_cmp_le_u32_e64 s[38:39], v23, v24                        // 0000000079F0: D0CB0026 00023117
	v_add_u32_e32 v23, 16, v23                                 // 0000000079F8: 682E2E90
	s_nop 0                                                    // 0000000079FC: BF800000
	v_cndmask_b32_e64 v43, v25, v43, s[38:39]                  // 000000007A00: D100002B 009A5719
	v_cmp_le_u32_e64 s[38:39], v20, v24                        // 000000007A08: D0CB0026 00023114
	v_add_u32_e32 v20, 16, v20                                 // 000000007A10: 68282890
	s_nop 0                                                    // 000000007A14: BF800000
	v_cndmask_b32_e64 v44, v25, v44, s[38:39]                  // 000000007A18: D100002C 009A5919
	v_cmp_le_u32_e64 s[38:39], v21, v24                        // 000000007A20: D0CB0026 00023115
	v_add_u32_e32 v21, 16, v21                                 // 000000007A28: 682A2A90
	s_nop 0                                                    // 000000007A2C: BF800000
	v_cndmask_b32_e64 v45, v25, v45, s[38:39]                  // 000000007A30: D100002D 009A5B19
	v_cmp_le_u32_e64 s[38:39], v22, v24                        // 000000007A38: D0CB0026 00023116
	v_add_u32_e32 v22, 16, v22                                 // 000000007A40: 682C2C90
	s_nop 0                                                    // 000000007A44: BF800000
	v_cndmask_b32_e64 v46, v25, v46, s[38:39]                  // 000000007A48: D100002E 009A5D19
	v_cmp_le_u32_e64 s[38:39], v23, v24                        // 000000007A50: D0CB0026 00023117
	v_add_u32_e32 v23, 16, v23                                 // 000000007A58: 682E2E90
	s_nop 0                                                    // 000000007A5C: BF800000
	v_cndmask_b32_e64 v47, v25, v47, s[38:39]                  // 000000007A60: D100002F 009A5F19

0000000000007a68 <label_15DA>:
	s_waitcnt lgkmcnt(0)                                       // 000000007A68: BF8CC07F
	s_barrier                                                  // 000000007A6C: BF8A0000
	v_mfma_f32_16x16x32_fp8_fp8 v[48:51], a[72:73], a[36:37], 0// 000000007A70: D3F30030 1A024948
	v_mfma_f32_16x16x32_fp8_fp8 v[48:51], a[74:75], a[38:39], v[48:51]// 000000007A78: D3F30030 1CC24D4A
	v_max3_f32 v24, v40, v41, v40                              // 000000007A80: D1D30018 04A25328
	v_max3_f32 v24, v42, v43, v24                              // 000000007A88: D1D30018 0462572A
	v_max3_f32 v24, v44, v45, v24                              // 000000007A90: D1D30018 04625B2C
	v_max3_f32 v24, v46, v47, v24                              // 000000007A98: D1D30018 04625F2E
	ds_write_b32 v3, v24 offset:53504                          // 000000007AA0: D81AD100 00001803
	v_mfma_f32_16x16x32_fp8_fp8 v[48:51], a[76:77], a[40:41], v[48:51]// 000000007AA8: D3F30030 1CC2514C
	buffer_load_dword v19, s[20:23], 0 offen offset:256 lds    // 000000007AB0: E0511100 80050013
	s_add_u32 m0, 0x3c0, s36                                   // 000000007AB8: 807C24FF 000003C0
	v_mfma_f32_16x16x32_fp8_fp8 v[48:51], a[78:79], a[42:43], v[48:51]// 000000007AC0: D3F30030 1CC2554E
	v_mfma_f32_16x16x32_fp8_fp8 v[48:51], a[80:81], a[44:45], v[48:51]// 000000007AC8: D3F30030 1CC25950
	buffer_load_dword v18, s[20:23], 0 offen offset:320 lds    // 000000007AD0: E0511140 80050012
	s_add_u32 m0, 0x3c0, s37                                   // 000000007AD8: 807C25FF 000003C0
	v_mfma_f32_16x16x32_fp8_fp8 v[48:51], a[82:83], a[46:47], v[48:51]// 000000007AE0: D3F30030 1CC25D52
	v_mfma_f32_16x16x32_fp8_fp8 v[48:51], a[84:85], a[48:49], v[48:51]// 000000007AE8: D3F30030 1CC26154
	s_waitcnt lgkmcnt(0)                                       // 000000007AF0: BF8CC07F
	ds_read_b32 v20, v2 offset:53504                           // 000000007AF4: D86CD100 14000002
	ds_read_b32 v21, v2 offset:53568                           // 000000007AFC: D86CD140 15000002
	v_mfma_f32_16x16x32_fp8_fp8 v[48:51], a[86:87], a[50:51], v[48:51]// 000000007B04: D3F30030 1CC26556
	ds_read_b32 v22, v2 offset:53632                           // 000000007B0C: D86CD180 16000002
	ds_read_b32 v23, v2 offset:53696                           // 000000007B14: D86CD1C0 17000002
	v_mfma_f32_16x16x32_fp8_fp8 v[48:51], a[88:89], a[52:53], v[48:51]// 000000007B1C: D3F30030 1CC26958
	buffer_load_dword v19, s[20:23], 0 offen offset:320 lds    // 000000007B24: E0511140 80050013
	s_add_u32 m0, 0x480, s36                                   // 000000007B2C: 807C24FF 00000480
	v_mfma_f32_16x16x32_fp8_fp8 v[48:51], a[90:91], a[54:55], v[48:51]// 000000007B34: D3F30030 1CC26D5A
	v_mfma_f32_16x16x32_fp8_fp8 v[48:51], a[92:93], a[56:57], v[48:51]// 000000007B3C: D3F30030 1CC2715C
	buffer_load_dword v18, s[20:23], 0 offen offset:384 lds    // 000000007B44: E0511180 80050012
	s_add_u32 m0, 0x480, s37                                   // 000000007B4C: 807C25FF 00000480
	v_mfma_f32_16x16x32_fp8_fp8 v[48:51], a[94:95], a[58:59], v[48:51]// 000000007B54: D3F30030 1CC2755E
	v_mfma_f32_16x16x32_fp8_fp8 v[48:51], a[96:97], a[60:61], v[48:51]// 000000007B5C: D3F30030 1CC27960
	buffer_load_dword v19, s[20:23], 0 offen offset:384 lds    // 000000007B64: E0511180 80050013
	s_add_u32 m0, 0x540, s36                                   // 000000007B6C: 807C24FF 00000540
	v_mfma_f32_16x16x32_fp8_fp8 v[48:51], a[98:99], a[62:63], v[48:51]// 000000007B74: D3F30030 1CC27D62
	v_mfma_f32_16x16x32_fp8_fp8 v[48:51], a[100:101], a[64:65], v[48:51]// 000000007B7C: D3F30030 1CC28164
	s_waitcnt lgkmcnt(0)                                       // 000000007B84: BF8CC07F
	v_max3_f32 v24, v20, v21, v24                              // 000000007B88: D1D30018 04622B14
	v_max3_f32 v24, v22, v23, v24                              // 000000007B90: D1D30018 04622F16
	v_mfma_f32_16x16x32_fp8_fp8 v[48:51], a[102:103], a[66:67], v[48:51]// 000000007B98: D3F30030 1CC28566
	v_mfma_f32_16x16x32_fp8_fp8 v[48:51], a[104:105], a[68:69], v[48:51]// 000000007BA0: D3F30030 1CC28968
	buffer_load_dword v18, s[20:23], 0 offen offset:448 lds    // 000000007BA8: E05111C0 80050012
	s_add_u32 m0, 0x540, s37                                   // 000000007BB0: 807C25FF 00000540
	v_mfma_f32_16x16x32_fp8_fp8 v[48:51], a[106:107], a[70:71], v[48:51]// 000000007BB8: D3F30030 1CC28D6A
	v_mfma_f32_16x16x32_fp8_fp8 v[52:55], a[108:109], a[36:37], 0// 000000007BC0: D3F30034 1A02496C
	buffer_load_dword v19, s[20:23], 0 offen offset:448 lds    // 000000007BC8: E05111C0 80050013
	s_add_u32 m0, 0x600, s36                                   // 000000007BD0: 807C24FF 00000600
	v_mfma_f32_16x16x32_fp8_fp8 v[52:55], a[110:111], a[38:39], v[52:55]// 000000007BD8: D3F30034 1CD24D6E
	v_mfma_f32_16x16x32_fp8_fp8 v[52:55], a[112:113], a[40:41], v[52:55]// 000000007BE0: D3F30034 1CD25170
	buffer_load_dword v18, s[20:23], 0 offen offset:512 lds    // 000000007BE8: E0511200 80050012
	s_add_u32 m0, 0x600, s37                                   // 000000007BF0: 807C25FF 00000600
	v_mfma_f32_16x16x32_fp8_fp8 v[52:55], a[114:115], a[42:43], v[52:55]// 000000007BF8: D3F30034 1CD25572
	ds_read_b128 a[72:75], v7 offset:37120                     // 000000007C00: DBFE9100 48000007
	ds_read_b128 a[76:79], v7 offset:38144                     // 000000007C08: DBFE9500 4C000007
	v_mfma_f32_16x16x32_fp8_fp8 v[52:55], a[116:117], a[44:45], v[52:55]// 000000007C10: D3F30034 1CD25974
	v_mfma_f32_16x16x32_fp8_fp8 v[52:55], a[118:119], a[46:47], v[52:55]// 000000007C18: D3F30034 1CD25D76
	v_mfma_f32_16x16x32_fp8_fp8 v[52:55], a[120:121], a[48:49], v[52:55]// 000000007C20: D3F30034 1CD26178
	buffer_load_dword v19, s[20:23], 0 offen offset:512 lds    // 000000007C28: E0511200 80050013
	s_add_u32 m0, 0x6c0, s36                                   // 000000007C30: 807C24FF 000006C0
	v_mfma_f32_16x16x32_fp8_fp8 v[52:55], a[122:123], a[50:51], v[52:55]// 000000007C38: D3F30034 1CD2657A
	ds_read_b128 a[80:83], v7 offset:39168                     // 000000007C40: DBFE9900 50000007
	ds_read_b128 a[84:87], v7 offset:40192                     // 000000007C48: DBFE9D00 54000007
	v_mfma_f32_16x16x32_fp8_fp8 v[52:55], a[124:125], a[52:53], v[52:55]// 000000007C50: D3F30034 1CD2697C
	v_mfma_f32_16x16x32_fp8_fp8 v[52:55], a[126:127], a[54:55], v[52:55]// 000000007C58: D3F30034 1CD26D7E
	v_mfma_f32_16x16x32_fp8_fp8 v[52:55], a[128:129], a[56:57], v[52:55]// 000000007C60: D3F30034 1CD27180
	v_mfma_f32_16x16x32_fp8_fp8 v[52:55], a[130:131], a[58:59], v[52:55]// 000000007C68: D3F30034 1CD27582
	ds_read_b128 a[88:91], v7 offset:41216                     // 000000007C70: DBFEA100 58000007
	ds_read_b128 a[92:95], v7 offset:42240                     // 000000007C78: DBFEA500 5C000007
	v_mfma_f32_16x16x32_fp8_fp8 v[52:55], a[132:133], a[60:61], v[52:55]// 000000007C80: D3F30034 1CD27984
	v_mfma_f32_16x16x32_fp8_fp8 v[52:55], a[134:135], a[62:63], v[52:55]// 000000007C88: D3F30034 1CD27D86
	v_mfma_f32_16x16x32_fp8_fp8 v[52:55], a[136:137], a[64:65], v[52:55]// 000000007C90: D3F30034 1CD28188
	v_mfma_f32_16x16x32_fp8_fp8 v[52:55], a[138:139], a[66:67], v[52:55]// 000000007C98: D3F30034 1CD2858A
	ds_read_b128 a[96:99], v7 offset:43264                     // 000000007CA0: DBFEA900 60000007
	ds_read_b128 a[100:103], v7 offset:44288                   // 000000007CA8: DBFEAD00 64000007
	v_mfma_f32_16x16x32_fp8_fp8 v[52:55], a[140:141], a[68:69], v[52:55]// 000000007CB0: D3F30034 1CD2898C
	v_mfma_f32_16x16x32_fp8_fp8 v[52:55], a[142:143], a[70:71], v[52:55]// 000000007CB8: D3F30034 1CD28D8E
	v_mov_b32_e32 v25, 0xff7fffff                              // 000000007CC0: 7E3202FF FF7FFFFF
	v_cmp_eq_u32_e64 s[38:39], v25, v12                        // 000000007CC8: D0CA0026 00021919
	v_max_f32_e32 v20, v24, v12                                // 000000007CD0: 16281918
	v_sub_f32_e32 v16, v12, v20                                // 000000007CD4: 0420290C
	v_cndmask_b32_e64 v16, v16, 0, s[38:39]                    // 000000007CD8: D1000010 00990110
	v_mov_b32_e32 v12, v20                                     // 000000007CE0: 7E180314
	v_mul_f32_e32 v21, s5, v20                                 // 000000007CE4: 0A2A2805
	v_mul_f32_e32 v16, s5, v16                                 // 000000007CE8: 0A202005
	v_exp_f32_e32 v16, v16                                     // 000000007CEC: 7E204110
	v_fma_f32 v40, v40, s5, -v21                               // 000000007CF0: D1CB0028 84540B28
	v_fma_f32 v41, v41, s5, -v21                               // 000000007CF8: D1CB0029 84540B29
	v_fma_f32 v42, v42, s5, -v21                               // 000000007D00: D1CB002A 84540B2A
	v_fma_f32 v43, v43, s5, -v21                               // 000000007D08: D1CB002B 84540B2B
	v_fma_f32 v44, v44, s5, -v21                               // 000000007D10: D1CB002C 84540B2C
	v_fma_f32 v45, v45, s5, -v21                               // 000000007D18: D1CB002D 84540B2D
	v_fma_f32 v46, v46, s5, -v21                               // 000000007D20: D1CB002E 84540B2E
	v_fma_f32 v47, v47, s5, -v21                               // 000000007D28: D1CB002F 84540B2F
	v_exp_f32_e32 v40, v40                                     // 000000007D30: 7E504128
	v_exp_f32_e32 v41, v41                                     // 000000007D34: 7E524129
	v_exp_f32_e32 v42, v42                                     // 000000007D38: 7E54412A
	v_exp_f32_e32 v43, v43                                     // 000000007D3C: 7E56412B
	v_exp_f32_e32 v44, v44                                     // 000000007D40: 7E58412C
	v_exp_f32_e32 v45, v45                                     // 000000007D44: 7E5A412D
	v_exp_f32_e32 v46, v46                                     // 000000007D48: 7E5C412E
	v_exp_f32_e32 v47, v47                                     // 000000007D4C: 7E5E412F
	v_mul_f32_e32 v14, v16, v14                                // 000000007D50: 0A1C1D10
	v_mov_b32_e32 v22, v40                                     // 000000007D54: 7E2C0328
	v_add_f32_e32 v22, v41, v22                                // 000000007D58: 022C2D29
	v_add_f32_e32 v22, v42, v22                                // 000000007D5C: 022C2D2A
	v_add_f32_e32 v22, v43, v22                                // 000000007D60: 022C2D2B
	v_add_f32_e32 v22, v44, v22                                // 000000007D64: 022C2D2C
	v_add_f32_e32 v22, v45, v22                                // 000000007D68: 022C2D2D
	v_add_f32_e32 v22, v46, v22                                // 000000007D6C: 022C2D2E
	v_add_f32_e32 v22, v47, v22                                // 000000007D70: 022C2D2F
	v_add_f32_e32 v14, v22, v14                                // 000000007D74: 021C1D16
	v_cvt_pk_fp8_f32 v40, v40, v41                             // 000000007D78: D2A20028 00025328
	v_cvt_pk_fp8_f32 v40, v42, v43 op_sel:[0,0,1]              // 000000007D80: D2A24028 0002572A
	v_cvt_pk_fp8_f32 v41, v44, v45                             // 000000007D88: D2A20029 00025B2C
	v_cvt_pk_fp8_f32 v41, v46, v47 op_sel:[0,0,1]              // 000000007D90: D2A24029 00025F2E
	s_nop 0                                                    // 000000007D98: BF800000
	s_cmp_le_i32 s83, s82                                      // 000000007D9C: BF055253
	s_cbranch_scc1 label_16E3                                  // 000000007DA0: BF85003A
	v_mov_b32_e32 v25, 0xff800000                              // 000000007DA4: 7E3202FF FF800000
	v_mov_b32_e32 v24, s82                                     // 000000007DAC: 7E300252
	s_sub_u32 s56, s83, 31                                     // 000000007DB0: 80B89F53
	v_lshrrev_b32_e32 v20, 4, v0                               // 000000007DB4: 20280084
	v_mul_i32_i24_e32 v20, 4, v20                              // 000000007DB8: 0C282884
	v_add_u32_e32 v20, s56, v20                                // 000000007DBC: 68282838
	v_add_u32_e32 v21, 1, v20                                  // 000000007DC0: 682A2881
	v_add_u32_e32 v22, 2, v20                                  // 000000007DC4: 682C2882
	v_add_u32_e32 v23, 3, v20                                  // 000000007DC8: 682E2883
	v_cmp_le_u32_e64 s[38:39], v20, v24                        // 000000007DCC: D0CB0026 00023114
	v_add_u32_e32 v20, 16, v20                                 // 000000007DD4: 68282890
	s_nop 0                                                    // 000000007DD8: BF800000
	v_cndmask_b32_e64 v48, v25, v48, s[38:39]                  // 000000007DDC: D1000030 009A6119
	v_cmp_le_u32_e64 s[38:39], v21, v24                        // 000000007DE4: D0CB0026 00023115
	v_add_u32_e32 v21, 16, v21                                 // 000000007DEC: 682A2A90
	s_nop 0                                                    // 000000007DF0: BF800000
	v_cndmask_b32_e64 v49, v25, v49, s[38:39]                  // 000000007DF4: D1000031 009A6319
	v_cmp_le_u32_e64 s[38:39], v22, v24                        // 000000007DFC: D0CB0026 00023116
	v_add_u32_e32 v22, 16, v22                                 // 000000007E04: 682C2C90
	s_nop 0                                                    // 000000007E08: BF800000
	v_cndmask_b32_e64 v50, v25, v50, s[38:39]                  // 000000007E0C: D1000032 009A6519
	v_cmp_le_u32_e64 s[38:39], v23, v24                        // 000000007E14: D0CB0026 00023117
	v_add_u32_e32 v23, 16, v23                                 // 000000007E1C: 682E2E90
	s_nop 0                                                    // 000000007E20: BF800000
	v_cndmask_b32_e64 v51, v25, v51, s[38:39]                  // 000000007E24: D1000033 009A6719
	v_cmp_le_u32_e64 s[38:39], v20, v24                        // 000000007E2C: D0CB0026 00023114
	v_add_u32_e32 v20, 16, v20                                 // 000000007E34: 68282890
	s_nop 0                                                    // 000000007E38: BF800000
	v_cndmask_b32_e64 v52, v25, v52, s[38:39]                  // 000000007E3C: D1000034 009A6919
	v_cmp_le_u32_e64 s[38:39], v21, v24                        // 000000007E44: D0CB0026 00023115
	v_add_u32_e32 v21, 16, v21                                 // 000000007E4C: 682A2A90
	s_nop 0                                                    // 000000007E50: BF800000
	v_cndmask_b32_e64 v53, v25, v53, s[38:39]                  // 000000007E54: D1000035 009A6B19
	v_cmp_le_u32_e64 s[38:39], v22, v24                        // 000000007E5C: D0CB0026 00023116
	v_add_u32_e32 v22, 16, v22                                 // 000000007E64: 682C2C90
	s_nop 0                                                    // 000000007E68: BF800000
	v_cndmask_b32_e64 v54, v25, v54, s[38:39]                  // 000000007E6C: D1000036 009A6D19
	v_cmp_le_u32_e64 s[38:39], v23, v24                        // 000000007E74: D0CB0026 00023117
	v_add_u32_e32 v23, 16, v23                                 // 000000007E7C: 682E2E90
	s_nop 0                                                    // 000000007E80: BF800000
	v_cndmask_b32_e64 v55, v25, v55, s[38:39]                  // 000000007E84: D1000037 009A6F19

0000000000007e8c <label_16E3>:
	s_add_u32 s83, s84, s83                                    // 000000007E8C: 80535354
	s_nop 0                                                    // 000000007E90: BF800000
	v_mul_u32_u24_dpp v18, v10, v9 row_newbcast:0 row_mask:0xf bank_mask:0xf// 000000007E94: 102412FA FF01500A
	v_mul_u32_u24_dpp v19, v10, v9 row_newbcast:8 row_mask:0xf bank_mask:0xf// 000000007E9C: 102612FA FF01580A
	v_add_u32_e32 v18, v18, v1                                 // 000000007EA4: 68240312
	v_add_u32_e32 v19, v19, v1                                 // 000000007EA8: 68260313
	s_mov_b32 m0, s34                                          // 000000007EAC: BEFC0022
	v_mov_b32_e32 v22, v16                                     // 000000007EB0: 7E2C0310
	v_mov_b32_e32 v23, v16                                     // 000000007EB4: 7E2E0310
	v_pk_mul_f32 v[56:57], v[22:23], v[56:57]                  // 000000007EB8: D3B14038 18027116
	v_pk_mul_f32 v[58:59], v[22:23], v[58:59]                  // 000000007EC0: D3B1403A 18027516
	v_pk_mul_f32 v[60:61], v[22:23], v[60:61]                  // 000000007EC8: D3B1403C 18027916
	v_pk_mul_f32 v[62:63], v[22:23], v[62:63]                  // 000000007ED0: D3B1403E 18027D16
	v_pk_mul_f32 v[64:65], v[22:23], v[64:65]                  // 000000007ED8: D3B14040 18028116
	v_pk_mul_f32 v[66:67], v[22:23], v[66:67]                  // 000000007EE0: D3B14042 18028516
	v_pk_mul_f32 v[68:69], v[22:23], v[68:69]                  // 000000007EE8: D3B14044 18028916
	v_pk_mul_f32 v[70:71], v[22:23], v[70:71]                  // 000000007EF0: D3B14046 18028D16
	v_pk_mul_f32 v[72:73], v[22:23], v[72:73]                  // 000000007EF8: D3B14048 18029116
	v_pk_mul_f32 v[74:75], v[22:23], v[74:75]                  // 000000007F00: D3B1404A 18029516
	v_pk_mul_f32 v[76:77], v[22:23], v[76:77]                  // 000000007F08: D3B1404C 18029916
	v_pk_mul_f32 v[78:79], v[22:23], v[78:79]                  // 000000007F10: D3B1404E 18029D16
	v_pk_mul_f32 v[80:81], v[22:23], v[80:81]                  // 000000007F18: D3B14050 1802A116
	v_pk_mul_f32 v[82:83], v[22:23], v[82:83]                  // 000000007F20: D3B14052 1802A516
	v_pk_mul_f32 v[84:85], v[22:23], v[84:85]                  // 000000007F28: D3B14054 1802A916
	v_pk_mul_f32 v[86:87], v[22:23], v[86:87]                  // 000000007F30: D3B14056 1802AD16
	v_pk_mul_f32 v[88:89], v[22:23], v[88:89]                  // 000000007F38: D3B14058 1802B116
	v_pk_mul_f32 v[90:91], v[22:23], v[90:91]                  // 000000007F40: D3B1405A 1802B516
	v_pk_mul_f32 v[92:93], v[22:23], v[92:93]                  // 000000007F48: D3B1405C 1802B916
	v_pk_mul_f32 v[94:95], v[22:23], v[94:95]                  // 000000007F50: D3B1405E 1802BD16
	v_pk_mul_f32 v[96:97], v[22:23], v[96:97]                  // 000000007F58: D3B14060 1802C116
	v_pk_mul_f32 v[98:99], v[22:23], v[98:99]                  // 000000007F60: D3B14062 1802C516
	v_pk_mul_f32 v[100:101], v[22:23], v[100:101]              // 000000007F68: D3B14064 1802C916
	v_pk_mul_f32 v[102:103], v[22:23], v[102:103]              // 000000007F70: D3B14066 1802CD16
	v_pk_mul_f32 v[104:105], v[22:23], v[104:105]              // 000000007F78: D3B14068 1802D116
	v_pk_mul_f32 v[106:107], v[22:23], v[106:107]              // 000000007F80: D3B1406A 1802D516
	v_pk_mul_f32 v[108:109], v[22:23], v[108:109]              // 000000007F88: D3B1406C 1802D916
	v_pk_mul_f32 v[110:111], v[22:23], v[110:111]              // 000000007F90: D3B1406E 1802DD16
	v_pk_mul_f32 v[112:113], v[22:23], v[112:113]              // 000000007F98: D3B14070 1802E116
	v_pk_mul_f32 v[114:115], v[22:23], v[114:115]              // 000000007FA0: D3B14072 1802E516
	v_pk_mul_f32 v[116:117], v[22:23], v[116:117]              // 000000007FA8: D3B14074 1802E916
	v_pk_mul_f32 v[118:119], v[22:23], v[118:119]              // 000000007FB0: D3B14076 1802ED16
	v_pk_mul_f32 v[120:121], v[22:23], v[120:121]              // 000000007FB8: D3B14078 1802F116
	v_pk_mul_f32 v[122:123], v[22:23], v[122:123]              // 000000007FC0: D3B1407A 1802F516
	v_pk_mul_f32 v[124:125], v[22:23], v[124:125]              // 000000007FC8: D3B1407C 1802F916
	v_pk_mul_f32 v[126:127], v[22:23], v[126:127]              // 000000007FD0: D3B1407E 1802FD16
	v_pk_mul_f32 v[128:129], v[22:23], v[128:129]              // 000000007FD8: D3B14080 18030116
	v_pk_mul_f32 v[130:131], v[22:23], v[130:131]              // 000000007FE0: D3B14082 18030516
	v_pk_mul_f32 v[132:133], v[22:23], v[132:133]              // 000000007FE8: D3B14084 18030916
	v_pk_mul_f32 v[134:135], v[22:23], v[134:135]              // 000000007FF0: D3B14086 18030D16
	v_pk_mul_f32 v[136:137], v[22:23], v[136:137]              // 000000007FF8: D3B14088 18031116
	v_pk_mul_f32 v[138:139], v[22:23], v[138:139]              // 000000008000: D3B1408A 18031516
	v_pk_mul_f32 v[140:141], v[22:23], v[140:141]              // 000000008008: D3B1408C 18031916
	v_pk_mul_f32 v[142:143], v[22:23], v[142:143]              // 000000008010: D3B1408E 18031D16
	v_pk_mul_f32 v[144:145], v[22:23], v[144:145]              // 000000008018: D3B14090 18032116
	v_pk_mul_f32 v[146:147], v[22:23], v[146:147]              // 000000008020: D3B14092 18032516
	v_pk_mul_f32 v[148:149], v[22:23], v[148:149]              // 000000008028: D3B14094 18032916
	v_pk_mul_f32 v[150:151], v[22:23], v[150:151]              // 000000008030: D3B14096 18032D16
	v_pk_mul_f32 v[152:153], v[22:23], v[152:153]              // 000000008038: D3B14098 18033116
	v_pk_mul_f32 v[154:155], v[22:23], v[154:155]              // 000000008040: D3B1409A 18033516
	v_accvgpr_read_b32 v20, a144                               // 000000008048: D3D84014 18000190
	v_accvgpr_read_b32 v21, a145                               // 000000008050: D3D84015 18000191
	v_pk_mul_f32 v[20:21], v[22:23], v[20:21]                  // 000000008058: D3B14014 18022916
	v_accvgpr_write_b32 a144, v20                              // 000000008060: D3D94090 18000114
	v_accvgpr_write_b32 a145, v21                              // 000000008068: D3D94091 18000115
	v_accvgpr_read_b32 v20, a146                               // 000000008070: D3D84014 18000192
	v_accvgpr_read_b32 v21, a147                               // 000000008078: D3D84015 18000193
	v_pk_mul_f32 v[20:21], v[22:23], v[20:21]                  // 000000008080: D3B14014 18022916
	v_accvgpr_write_b32 a146, v20                              // 000000008088: D3D94092 18000114
	v_accvgpr_write_b32 a147, v21                              // 000000008090: D3D94093 18000115
	v_accvgpr_read_b32 v20, a148                               // 000000008098: D3D84014 18000194
	v_accvgpr_read_b32 v21, a149                               // 0000000080A0: D3D84015 18000195
	v_pk_mul_f32 v[20:21], v[22:23], v[20:21]                  // 0000000080A8: D3B14014 18022916
	v_accvgpr_write_b32 a148, v20                              // 0000000080B0: D3D94094 18000114
	v_accvgpr_write_b32 a149, v21                              // 0000000080B8: D3D94095 18000115
	v_accvgpr_read_b32 v20, a150                               // 0000000080C0: D3D84014 18000196
	v_accvgpr_read_b32 v21, a151                               // 0000000080C8: D3D84015 18000197
	v_pk_mul_f32 v[20:21], v[22:23], v[20:21]                  // 0000000080D0: D3B14014 18022916
	v_accvgpr_write_b32 a150, v20                              // 0000000080D8: D3D94096 18000114
	v_accvgpr_write_b32 a151, v21                              // 0000000080E0: D3D94097 18000115
	v_accvgpr_read_b32 v20, a152                               // 0000000080E8: D3D84014 18000198
	v_accvgpr_read_b32 v21, a153                               // 0000000080F0: D3D84015 18000199
	v_pk_mul_f32 v[20:21], v[22:23], v[20:21]                  // 0000000080F8: D3B14014 18022916
	v_accvgpr_write_b32 a152, v20                              // 000000008100: D3D94098 18000114
	v_accvgpr_write_b32 a153, v21                              // 000000008108: D3D94099 18000115
	v_accvgpr_read_b32 v20, a154                               // 000000008110: D3D84014 1800019A
	v_accvgpr_read_b32 v21, a155                               // 000000008118: D3D84015 1800019B
	v_pk_mul_f32 v[20:21], v[22:23], v[20:21]                  // 000000008120: D3B14014 18022916
	v_accvgpr_write_b32 a154, v20                              // 000000008128: D3D9409A 18000114
	v_accvgpr_write_b32 a155, v21                              // 000000008130: D3D9409B 18000115
	v_accvgpr_read_b32 v20, a156                               // 000000008138: D3D84014 1800019C
	v_accvgpr_read_b32 v21, a157                               // 000000008140: D3D84015 1800019D
	v_pk_mul_f32 v[20:21], v[22:23], v[20:21]                  // 000000008148: D3B14014 18022916
	v_accvgpr_write_b32 a156, v20                              // 000000008150: D3D9409C 18000114
	v_accvgpr_write_b32 a157, v21                              // 000000008158: D3D9409D 18000115
	v_accvgpr_read_b32 v20, a158                               // 000000008160: D3D84014 1800019E
	v_accvgpr_read_b32 v21, a159                               // 000000008168: D3D84015 1800019F
	v_pk_mul_f32 v[20:21], v[22:23], v[20:21]                  // 000000008170: D3B14014 18022916
	v_accvgpr_write_b32 a158, v20                              // 000000008178: D3D9409E 18000114
	v_accvgpr_write_b32 a159, v21                              // 000000008180: D3D9409F 18000115
	v_accvgpr_read_b32 v20, a160                               // 000000008188: D3D84014 180001A0
	v_accvgpr_read_b32 v21, a161                               // 000000008190: D3D84015 180001A1
	v_pk_mul_f32 v[20:21], v[22:23], v[20:21]                  // 000000008198: D3B14014 18022916
	v_accvgpr_write_b32 a160, v20                              // 0000000081A0: D3D940A0 18000114
	v_accvgpr_write_b32 a161, v21                              // 0000000081A8: D3D940A1 18000115
	v_accvgpr_read_b32 v20, a162                               // 0000000081B0: D3D84014 180001A2
	v_accvgpr_read_b32 v21, a163                               // 0000000081B8: D3D84015 180001A3
	v_pk_mul_f32 v[20:21], v[22:23], v[20:21]                  // 0000000081C0: D3B14014 18022916
	v_accvgpr_write_b32 a162, v20                              // 0000000081C8: D3D940A2 18000114
	v_accvgpr_write_b32 a163, v21                              // 0000000081D0: D3D940A3 18000115
	v_accvgpr_read_b32 v20, a164                               // 0000000081D8: D3D84014 180001A4
	v_accvgpr_read_b32 v21, a165                               // 0000000081E0: D3D84015 180001A5
	v_pk_mul_f32 v[20:21], v[22:23], v[20:21]                  // 0000000081E8: D3B14014 18022916
	v_accvgpr_write_b32 a164, v20                              // 0000000081F0: D3D940A4 18000114
	v_accvgpr_write_b32 a165, v21                              // 0000000081F8: D3D940A5 18000115
	v_accvgpr_read_b32 v20, a166                               // 000000008200: D3D84014 180001A6
	v_accvgpr_read_b32 v21, a167                               // 000000008208: D3D84015 180001A7
	v_pk_mul_f32 v[20:21], v[22:23], v[20:21]                  // 000000008210: D3B14014 18022916
	v_accvgpr_write_b32 a166, v20                              // 000000008218: D3D940A6 18000114
	v_accvgpr_write_b32 a167, v21                              // 000000008220: D3D940A7 18000115
	v_accvgpr_read_b32 v20, a168                               // 000000008228: D3D84014 180001A8
	v_accvgpr_read_b32 v21, a169                               // 000000008230: D3D84015 180001A9
	v_pk_mul_f32 v[20:21], v[22:23], v[20:21]                  // 000000008238: D3B14014 18022916
	v_accvgpr_write_b32 a168, v20                              // 000000008240: D3D940A8 18000114
	v_accvgpr_write_b32 a169, v21                              // 000000008248: D3D940A9 18000115
	v_accvgpr_read_b32 v20, a170                               // 000000008250: D3D84014 180001AA
	v_accvgpr_read_b32 v21, a171                               // 000000008258: D3D84015 180001AB
	v_pk_mul_f32 v[20:21], v[22:23], v[20:21]                  // 000000008260: D3B14014 18022916
	v_accvgpr_write_b32 a170, v20                              // 000000008268: D3D940AA 18000114
	v_accvgpr_write_b32 a171, v21                              // 000000008270: D3D940AB 18000115
	s_waitcnt lgkmcnt(0)                                       // 000000008278: BF8CC07F
	v_mfma_f32_16x16x32_fp8_fp8 v[56:59], a[72:73], v[40:41], v[56:59]// 00000000827C: D3F30038 0CE25148
	v_mfma_f32_16x16x32_fp8_fp8 v[60:63], a[74:75], v[40:41], v[60:63]// 000000008284: D3F3003C 0CF2514A
	ds_read_b128 a[104:107], v7 offset:45312                   // 00000000828C: DBFEB100 68000007
	ds_read_b128 a[108:111], v7 offset:46336                   // 000000008294: DBFEB500 6C000007
	v_mfma_f32_16x16x32_fp8_fp8 v[64:67], a[76:77], v[40:41], v[64:67]// 00000000829C: D3F30040 0D02514C
	v_mfma_f32_16x16x32_fp8_fp8 v[68:71], a[78:79], v[40:41], v[68:71]// 0000000082A4: D3F30044 0D12514E
	v_mfma_f32_16x16x32_fp8_fp8 v[72:75], a[80:81], v[40:41], v[72:75]// 0000000082AC: D3F30048 0D225150
	v_mfma_f32_16x16x32_fp8_fp8 v[76:79], a[82:83], v[40:41], v[76:79]// 0000000082B4: D3F3004C 0D325152
	ds_read_b128 a[112:115], v7 offset:47360                   // 0000000082BC: DBFEB900 70000007
	ds_read_b128 a[116:119], v7 offset:48384                   // 0000000082C4: DBFEBD00 74000007
	v_mfma_f32_16x16x32_fp8_fp8 v[80:83], a[84:85], v[40:41], v[80:83]// 0000000082CC: D3F30050 0D425154
	v_mfma_f32_16x16x32_fp8_fp8 v[84:87], a[86:87], v[40:41], v[84:87]// 0000000082D4: D3F30054 0D525156
	v_mfma_f32_16x16x32_fp8_fp8 v[88:91], a[88:89], v[40:41], v[88:91]// 0000000082DC: D3F30058 0D625158
	v_mfma_f32_16x16x32_fp8_fp8 v[92:95], a[90:91], v[40:41], v[92:95]// 0000000082E4: D3F3005C 0D72515A
	ds_read_b128 a[120:123], v7 offset:49408                   // 0000000082EC: DBFEC100 78000007
	ds_read_b128 a[124:127], v7 offset:50432                   // 0000000082F4: DBFEC500 7C000007
	v_mfma_f32_16x16x32_fp8_fp8 v[96:99], a[92:93], v[40:41], v[96:99]// 0000000082FC: D3F30060 0D82515C
	v_mfma_f32_16x16x32_fp8_fp8 v[100:103], a[94:95], v[40:41], v[100:103]// 000000008304: D3F30064 0D92515E
	v_mfma_f32_16x16x32_fp8_fp8 v[104:107], a[96:97], v[40:41], v[104:107]// 00000000830C: D3F30068 0DA25160
	v_mfma_f32_16x16x32_fp8_fp8 v[108:111], a[98:99], v[40:41], v[108:111]// 000000008314: D3F3006C 0DB25162
	ds_read_b128 a[128:131], v7 offset:51456                   // 00000000831C: DBFEC900 80000007
	ds_read_b128 a[132:135], v7 offset:52480                   // 000000008324: DBFECD00 84000007
	v_mfma_f32_16x16x32_fp8_fp8 v[112:115], a[100:101], v[40:41], v[112:115]// 00000000832C: D3F30070 0DC25164
	v_mfma_f32_16x16x32_fp8_fp8 v[116:119], a[102:103], v[40:41], v[116:119]// 000000008334: D3F30074 0DD25166
	s_waitcnt lgkmcnt(4)                                       // 00000000833C: BF8CC47F
	v_mfma_f32_16x16x32_fp8_fp8 v[120:123], a[104:105], v[40:41], v[120:123]// 000000008340: D3F30078 0DE25168
	v_max3_f32 v24, v48, v49, v48                              // 000000008348: D1D30018 04C26330
	v_max3_f32 v24, v50, v51, v24                              // 000000008350: D1D30018 04626732
	v_max3_f32 v24, v52, v53, v24                              // 000000008358: D1D30018 04626B34
	v_max3_f32 v24, v54, v55, v24                              // 000000008360: D1D30018 04626F36
	ds_write_b32 v3, v24 offset:54528                          // 000000008368: D81AD500 00001803
	v_mfma_f32_16x16x32_fp8_fp8 v[124:127], a[106:107], v[40:41], v[124:127]// 000000008370: D3F3007C 0DF2516A
	v_mfma_f32_16x16x32_fp8_fp8 v[128:131], a[108:109], v[40:41], v[128:131]// 000000008378: D3F30080 0E02516C
	v_mfma_f32_16x16x32_fp8_fp8 v[132:135], a[110:111], v[40:41], v[132:135]// 000000008380: D3F30084 0E12516E
	v_mfma_f32_16x16x32_fp8_fp8 v[136:139], a[112:113], v[40:41], v[136:139]// 000000008388: D3F30088 0E225170
	v_mfma_f32_16x16x32_fp8_fp8 v[140:143], a[114:115], v[40:41], v[140:143]// 000000008390: D3F3008C 0E325172
	v_mfma_f32_16x16x32_fp8_fp8 v[144:147], a[116:117], v[40:41], v[144:147]// 000000008398: D3F30090 0E425174
	v_mfma_f32_16x16x32_fp8_fp8 v[148:151], a[118:119], v[40:41], v[148:151]// 0000000083A0: D3F30094 0E525176
	s_waitcnt lgkmcnt(0)                                       // 0000000083A8: BF8CC07F
	v_mfma_f32_16x16x32_fp8_fp8 v[152:155], a[120:121], v[40:41], v[152:155]// 0000000083AC: D3F30098 0E625178
	s_waitcnt lgkmcnt(0)                                       // 0000000083B4: BF8CC07F
	ds_read_b32 v20, v2 offset:54528                           // 0000000083B8: D86CD500 14000002
	ds_read_b32 v21, v2 offset:54592                           // 0000000083C0: D86CD540 15000002
	v_mfma_f32_16x16x32_fp8_fp8 a[144:147], a[122:123], v[40:41], a[144:147]// 0000000083C8: D3F38090 0E42517A
	ds_read_b32 v22, v2 offset:54656                           // 0000000083D0: D86CD580 16000002
	ds_read_b32 v23, v2 offset:54720                           // 0000000083D8: D86CD5C0 17000002
	v_mfma_f32_16x16x32_fp8_fp8 a[148:151], a[124:125], v[40:41], a[148:151]// 0000000083E0: D3F38094 0E52517C
	v_mfma_f32_16x16x32_fp8_fp8 a[152:155], a[126:127], v[40:41], a[152:155]// 0000000083E8: D3F38098 0E62517E
	v_mfma_f32_16x16x32_fp8_fp8 a[156:159], a[128:129], v[40:41], a[156:159]// 0000000083F0: D3F3809C 0E725180
	v_mfma_f32_16x16x32_fp8_fp8 a[160:163], a[130:131], v[40:41], a[160:163]// 0000000083F8: D3F380A0 0E825182
	v_mfma_f32_16x16x32_fp8_fp8 a[164:167], a[132:133], v[40:41], a[164:167]// 000000008400: D3F380A4 0E925184
	v_mfma_f32_16x16x32_fp8_fp8 a[168:171], a[134:135], v[40:41], a[168:171]// 000000008408: D3F380A8 0EA25186
	s_waitcnt lgkmcnt(0)                                       // 000000008410: BF8CC07F
	v_max3_f32 v24, v20, v21, v24                              // 000000008414: D1D30018 04622B14
	v_max3_f32 v24, v22, v23, v24                              // 00000000841C: D1D30018 04622F16
	v_mov_b32_e32 v25, 0xff7fffff                              // 000000008424: 7E3202FF FF7FFFFF
	v_cmp_eq_u32_e64 s[38:39], v25, v13                        // 00000000842C: D0CA0026 00021B19
	v_max_f32_e32 v20, v24, v13                                // 000000008434: 16281B18
	v_sub_f32_e32 v17, v13, v20                                // 000000008438: 0422290D
	v_cndmask_b32_e64 v17, v17, 0, s[38:39]                    // 00000000843C: D1000011 00990111
	v_mov_b32_e32 v13, v20                                     // 000000008444: 7E1A0314
	v_mul_f32_e32 v21, s5, v20                                 // 000000008448: 0A2A2805
	v_mul_f32_e32 v17, s5, v17                                 // 00000000844C: 0A222205
	v_exp_f32_e32 v17, v17                                     // 000000008450: 7E224111
	v_fma_f32 v48, v48, s5, -v21                               // 000000008454: D1CB0030 84540B30
	v_fma_f32 v49, v49, s5, -v21                               // 00000000845C: D1CB0031 84540B31
	v_fma_f32 v50, v50, s5, -v21                               // 000000008464: D1CB0032 84540B32
	v_fma_f32 v51, v51, s5, -v21                               // 00000000846C: D1CB0033 84540B33
	v_fma_f32 v52, v52, s5, -v21                               // 000000008474: D1CB0034 84540B34
	v_fma_f32 v53, v53, s5, -v21                               // 00000000847C: D1CB0035 84540B35
	v_fma_f32 v54, v54, s5, -v21                               // 000000008484: D1CB0036 84540B36
	v_fma_f32 v55, v55, s5, -v21                               // 00000000848C: D1CB0037 84540B37
	v_exp_f32_e32 v48, v48                                     // 000000008494: 7E604130
	v_exp_f32_e32 v49, v49                                     // 000000008498: 7E624131
	v_exp_f32_e32 v50, v50                                     // 00000000849C: 7E644132
	v_exp_f32_e32 v51, v51                                     // 0000000084A0: 7E664133
	v_exp_f32_e32 v52, v52                                     // 0000000084A4: 7E684134
	v_exp_f32_e32 v53, v53                                     // 0000000084A8: 7E6A4135
	v_exp_f32_e32 v54, v54                                     // 0000000084AC: 7E6C4136
	v_exp_f32_e32 v55, v55                                     // 0000000084B0: 7E6E4137
	v_mul_f32_e32 v15, v17, v15                                // 0000000084B4: 0A1E1F11
	v_mov_b32_e32 v22, v48                                     // 0000000084B8: 7E2C0330
	v_add_f32_e32 v22, v49, v22                                // 0000000084BC: 022C2D31
	v_add_f32_e32 v22, v50, v22                                // 0000000084C0: 022C2D32
	v_add_f32_e32 v22, v51, v22                                // 0000000084C4: 022C2D33
	v_add_f32_e32 v22, v52, v22                                // 0000000084C8: 022C2D34
	v_add_f32_e32 v22, v53, v22                                // 0000000084CC: 022C2D35
	v_add_f32_e32 v22, v54, v22                                // 0000000084D0: 022C2D36
	v_add_f32_e32 v22, v55, v22                                // 0000000084D4: 022C2D37
	v_add_f32_e32 v15, v22, v15                                // 0000000084D8: 021E1F16
	v_cvt_pk_fp8_f32 v42, v48, v49                             // 0000000084DC: D2A2002A 00026330
	v_cvt_pk_fp8_f32 v42, v50, v51 op_sel:[0,0,1]              // 0000000084E4: D2A2402A 00026732
	v_cvt_pk_fp8_f32 v43, v52, v53                             // 0000000084EC: D2A2002B 00026B34
	v_cvt_pk_fp8_f32 v43, v54, v55 op_sel:[0,0,1]              // 0000000084F4: D2A2402B 00026F36
	s_nop 0                                                    // 0000000084FC: BF800000
	v_mov_b32_e32 v22, v17                                     // 000000008500: 7E2C0311
	v_mov_b32_e32 v23, v17                                     // 000000008504: 7E2E0311
	v_pk_mul_f32 v[156:157], v[22:23], v[156:157]              // 000000008508: D3B1409C 18033916
	v_pk_mul_f32 v[158:159], v[22:23], v[158:159]              // 000000008510: D3B1409E 18033D16
	v_pk_mul_f32 v[160:161], v[22:23], v[160:161]              // 000000008518: D3B140A0 18034116
	v_pk_mul_f32 v[162:163], v[22:23], v[162:163]              // 000000008520: D3B140A2 18034516
	v_pk_mul_f32 v[164:165], v[22:23], v[164:165]              // 000000008528: D3B140A4 18034916
	v_pk_mul_f32 v[166:167], v[22:23], v[166:167]              // 000000008530: D3B140A6 18034D16
	v_pk_mul_f32 v[168:169], v[22:23], v[168:169]              // 000000008538: D3B140A8 18035116
	v_pk_mul_f32 v[170:171], v[22:23], v[170:171]              // 000000008540: D3B140AA 18035516
	v_pk_mul_f32 v[172:173], v[22:23], v[172:173]              // 000000008548: D3B140AC 18035916
	v_pk_mul_f32 v[174:175], v[22:23], v[174:175]              // 000000008550: D3B140AE 18035D16
	v_pk_mul_f32 v[176:177], v[22:23], v[176:177]              // 000000008558: D3B140B0 18036116
	v_pk_mul_f32 v[178:179], v[22:23], v[178:179]              // 000000008560: D3B140B2 18036516
	v_pk_mul_f32 v[180:181], v[22:23], v[180:181]              // 000000008568: D3B140B4 18036916
	v_pk_mul_f32 v[182:183], v[22:23], v[182:183]              // 000000008570: D3B140B6 18036D16
	v_pk_mul_f32 v[184:185], v[22:23], v[184:185]              // 000000008578: D3B140B8 18037116
	v_pk_mul_f32 v[186:187], v[22:23], v[186:187]              // 000000008580: D3B140BA 18037516
	v_pk_mul_f32 v[188:189], v[22:23], v[188:189]              // 000000008588: D3B140BC 18037916
	v_pk_mul_f32 v[190:191], v[22:23], v[190:191]              // 000000008590: D3B140BE 18037D16
	v_pk_mul_f32 v[192:193], v[22:23], v[192:193]              // 000000008598: D3B140C0 18038116
	v_pk_mul_f32 v[194:195], v[22:23], v[194:195]              // 0000000085A0: D3B140C2 18038516
	v_pk_mul_f32 v[196:197], v[22:23], v[196:197]              // 0000000085A8: D3B140C4 18038916
	v_pk_mul_f32 v[198:199], v[22:23], v[198:199]              // 0000000085B0: D3B140C6 18038D16
	v_pk_mul_f32 v[200:201], v[22:23], v[200:201]              // 0000000085B8: D3B140C8 18039116
	v_pk_mul_f32 v[202:203], v[22:23], v[202:203]              // 0000000085C0: D3B140CA 18039516
	v_pk_mul_f32 v[204:205], v[22:23], v[204:205]              // 0000000085C8: D3B140CC 18039916
	v_pk_mul_f32 v[206:207], v[22:23], v[206:207]              // 0000000085D0: D3B140CE 18039D16
	v_pk_mul_f32 v[208:209], v[22:23], v[208:209]              // 0000000085D8: D3B140D0 1803A116
	v_pk_mul_f32 v[210:211], v[22:23], v[210:211]              // 0000000085E0: D3B140D2 1803A516
	v_pk_mul_f32 v[212:213], v[22:23], v[212:213]              // 0000000085E8: D3B140D4 1803A916
	v_pk_mul_f32 v[214:215], v[22:23], v[214:215]              // 0000000085F0: D3B140D6 1803AD16
	v_pk_mul_f32 v[216:217], v[22:23], v[216:217]              // 0000000085F8: D3B140D8 1803B116
	v_pk_mul_f32 v[218:219], v[22:23], v[218:219]              // 000000008600: D3B140DA 1803B516
	v_pk_mul_f32 v[220:221], v[22:23], v[220:221]              // 000000008608: D3B140DC 1803B916
	v_pk_mul_f32 v[222:223], v[22:23], v[222:223]              // 000000008610: D3B140DE 1803BD16
	v_pk_mul_f32 v[224:225], v[22:23], v[224:225]              // 000000008618: D3B140E0 1803C116
	v_pk_mul_f32 v[226:227], v[22:23], v[226:227]              // 000000008620: D3B140E2 1803C516
	v_pk_mul_f32 v[228:229], v[22:23], v[228:229]              // 000000008628: D3B140E4 1803C916
	v_pk_mul_f32 v[230:231], v[22:23], v[230:231]              // 000000008630: D3B140E6 1803CD16
	v_pk_mul_f32 v[232:233], v[22:23], v[232:233]              // 000000008638: D3B140E8 1803D116
	v_pk_mul_f32 v[234:235], v[22:23], v[234:235]              // 000000008640: D3B140EA 1803D516
	v_pk_mul_f32 v[236:237], v[22:23], v[236:237]              // 000000008648: D3B140EC 1803D916
	v_pk_mul_f32 v[238:239], v[22:23], v[238:239]              // 000000008650: D3B140EE 1803DD16
	v_pk_mul_f32 v[240:241], v[22:23], v[240:241]              // 000000008658: D3B140F0 1803E116
	v_pk_mul_f32 v[242:243], v[22:23], v[242:243]              // 000000008660: D3B140F2 1803E516
	v_pk_mul_f32 v[244:245], v[22:23], v[244:245]              // 000000008668: D3B140F4 1803E916
	v_pk_mul_f32 v[246:247], v[22:23], v[246:247]              // 000000008670: D3B140F6 1803ED16
	v_pk_mul_f32 v[248:249], v[22:23], v[248:249]              // 000000008678: D3B140F8 1803F116
	v_pk_mul_f32 v[250:251], v[22:23], v[250:251]              // 000000008680: D3B140FA 1803F516
	v_pk_mul_f32 v[252:253], v[22:23], v[252:253]              // 000000008688: D3B140FC 1803F916
	v_pk_mul_f32 v[254:255], v[22:23], v[254:255]              // 000000008690: D3B140FE 1803FD16
	v_accvgpr_read_b32 v20, a172                               // 000000008698: D3D84014 180001AC
	v_accvgpr_read_b32 v21, a173                               // 0000000086A0: D3D84015 180001AD
	v_pk_mul_f32 v[20:21], v[22:23], v[20:21]                  // 0000000086A8: D3B14014 18022916
	v_accvgpr_write_b32 a172, v20                              // 0000000086B0: D3D940AC 18000114
	v_accvgpr_write_b32 a173, v21                              // 0000000086B8: D3D940AD 18000115
	v_accvgpr_read_b32 v20, a174                               // 0000000086C0: D3D84014 180001AE
	v_accvgpr_read_b32 v21, a175                               // 0000000086C8: D3D84015 180001AF
	v_pk_mul_f32 v[20:21], v[22:23], v[20:21]                  // 0000000086D0: D3B14014 18022916
	v_accvgpr_write_b32 a174, v20                              // 0000000086D8: D3D940AE 18000114
	v_accvgpr_write_b32 a175, v21                              // 0000000086E0: D3D940AF 18000115
	v_accvgpr_read_b32 v20, a176                               // 0000000086E8: D3D84014 180001B0
	v_accvgpr_read_b32 v21, a177                               // 0000000086F0: D3D84015 180001B1
	v_pk_mul_f32 v[20:21], v[22:23], v[20:21]                  // 0000000086F8: D3B14014 18022916
	v_accvgpr_write_b32 a176, v20                              // 000000008700: D3D940B0 18000114
	v_accvgpr_write_b32 a177, v21                              // 000000008708: D3D940B1 18000115
	v_accvgpr_read_b32 v20, a178                               // 000000008710: D3D84014 180001B2
	v_accvgpr_read_b32 v21, a179                               // 000000008718: D3D84015 180001B3
	v_pk_mul_f32 v[20:21], v[22:23], v[20:21]                  // 000000008720: D3B14014 18022916
	v_accvgpr_write_b32 a178, v20                              // 000000008728: D3D940B2 18000114
	v_accvgpr_write_b32 a179, v21                              // 000000008730: D3D940B3 18000115
	v_accvgpr_read_b32 v20, a180                               // 000000008738: D3D84014 180001B4
	v_accvgpr_read_b32 v21, a181                               // 000000008740: D3D84015 180001B5
	v_pk_mul_f32 v[20:21], v[22:23], v[20:21]                  // 000000008748: D3B14014 18022916
	v_accvgpr_write_b32 a180, v20                              // 000000008750: D3D940B4 18000114
	v_accvgpr_write_b32 a181, v21                              // 000000008758: D3D940B5 18000115
	v_accvgpr_read_b32 v20, a182                               // 000000008760: D3D84014 180001B6
	v_accvgpr_read_b32 v21, a183                               // 000000008768: D3D84015 180001B7
	v_pk_mul_f32 v[20:21], v[22:23], v[20:21]                  // 000000008770: D3B14014 18022916
	v_accvgpr_write_b32 a182, v20                              // 000000008778: D3D940B6 18000114
	v_accvgpr_write_b32 a183, v21                              // 000000008780: D3D940B7 18000115
	v_accvgpr_read_b32 v20, a184                               // 000000008788: D3D84014 180001B8
	v_accvgpr_read_b32 v21, a185                               // 000000008790: D3D84015 180001B9
	v_pk_mul_f32 v[20:21], v[22:23], v[20:21]                  // 000000008798: D3B14014 18022916
	v_accvgpr_write_b32 a184, v20                              // 0000000087A0: D3D940B8 18000114
	v_accvgpr_write_b32 a185, v21                              // 0000000087A8: D3D940B9 18000115
	v_accvgpr_read_b32 v20, a186                               // 0000000087B0: D3D84014 180001BA
	v_accvgpr_read_b32 v21, a187                               // 0000000087B8: D3D84015 180001BB
	v_pk_mul_f32 v[20:21], v[22:23], v[20:21]                  // 0000000087C0: D3B14014 18022916
	v_accvgpr_write_b32 a186, v20                              // 0000000087C8: D3D940BA 18000114
	v_accvgpr_write_b32 a187, v21                              // 0000000087D0: D3D940BB 18000115
	v_accvgpr_read_b32 v20, a188                               // 0000000087D8: D3D84014 180001BC
	v_accvgpr_read_b32 v21, a189                               // 0000000087E0: D3D84015 180001BD
	v_pk_mul_f32 v[20:21], v[22:23], v[20:21]                  // 0000000087E8: D3B14014 18022916
	v_accvgpr_write_b32 a188, v20                              // 0000000087F0: D3D940BC 18000114
	v_accvgpr_write_b32 a189, v21                              // 0000000087F8: D3D940BD 18000115
	v_accvgpr_read_b32 v20, a190                               // 000000008800: D3D84014 180001BE
	v_accvgpr_read_b32 v21, a191                               // 000000008808: D3D84015 180001BF
	v_pk_mul_f32 v[20:21], v[22:23], v[20:21]                  // 000000008810: D3B14014 18022916
	v_accvgpr_write_b32 a190, v20                              // 000000008818: D3D940BE 18000114
	v_accvgpr_write_b32 a191, v21                              // 000000008820: D3D940BF 18000115
	v_accvgpr_read_b32 v20, a192                               // 000000008828: D3D84014 180001C0
	v_accvgpr_read_b32 v21, a193                               // 000000008830: D3D84015 180001C1
	v_pk_mul_f32 v[20:21], v[22:23], v[20:21]                  // 000000008838: D3B14014 18022916
	v_accvgpr_write_b32 a192, v20                              // 000000008840: D3D940C0 18000114
	v_accvgpr_write_b32 a193, v21                              // 000000008848: D3D940C1 18000115
	v_accvgpr_read_b32 v20, a194                               // 000000008850: D3D84014 180001C2
	v_accvgpr_read_b32 v21, a195                               // 000000008858: D3D84015 180001C3
	v_pk_mul_f32 v[20:21], v[22:23], v[20:21]                  // 000000008860: D3B14014 18022916
	v_accvgpr_write_b32 a194, v20                              // 000000008868: D3D940C2 18000114
	v_accvgpr_write_b32 a195, v21                              // 000000008870: D3D940C3 18000115
	v_accvgpr_read_b32 v20, a196                               // 000000008878: D3D84014 180001C4
	v_accvgpr_read_b32 v21, a197                               // 000000008880: D3D84015 180001C5
	v_pk_mul_f32 v[20:21], v[22:23], v[20:21]                  // 000000008888: D3B14014 18022916
	v_accvgpr_write_b32 a196, v20                              // 000000008890: D3D940C4 18000114
	v_accvgpr_write_b32 a197, v21                              // 000000008898: D3D940C5 18000115
	v_accvgpr_read_b32 v20, a198                               // 0000000088A0: D3D84014 180001C6
	v_accvgpr_read_b32 v21, a199                               // 0000000088A8: D3D84015 180001C7
	v_pk_mul_f32 v[20:21], v[22:23], v[20:21]                  // 0000000088B0: D3B14014 18022916
	v_accvgpr_write_b32 a198, v20                              // 0000000088B8: D3D940C6 18000114
	v_accvgpr_write_b32 a199, v21                              // 0000000088C0: D3D940C7 18000115
	s_waitcnt vmcnt(18) lgkmcnt(0)                             // 0000000088C8: BF8C4072
	s_barrier                                                  // 0000000088CC: BF8A0000
	v_mfma_f32_16x16x32_fp8_fp8 v[156:159], a[72:73], v[42:43], v[156:159]// 0000000088D0: D3F3009C 0E725548
	ds_read_b32 v20, v5                                        // 0000000088D8: D86C0000 14000005
	ds_read_b32 v21, v5 offset:4640                            // 0000000088E0: D86C1220 15000005
	ds_read_b32 v22, v5 offset:9280                            // 0000000088E8: D86C2440 16000005
	ds_read_b32 v23, v5 offset:13920                           // 0000000088F0: D86C3660 17000005
	v_mfma_f32_16x16x32_fp8_fp8 v[160:163], a[74:75], v[42:43], v[160:163]// 0000000088F8: D3F300A0 0E82554A
	v_mfma_f32_16x16x32_fp8_fp8 v[164:167], a[76:77], v[42:43], v[164:167]// 000000008900: D3F300A4 0E92554C
	ds_read_b32 v24, v5 offset:128                             // 000000008908: D86C0080 18000005
	ds_read_b32 v25, v5 offset:4768                            // 000000008910: D86C12A0 19000005
	ds_read_b32 v26, v5 offset:9408                            // 000000008918: D86C24C0 1A000005
	ds_read_b32 v27, v5 offset:14048                           // 000000008920: D86C36E0 1B000005
	v_mfma_f32_16x16x32_fp8_fp8 v[168:171], a[78:79], v[42:43], v[168:171]// 000000008928: D3F300A8 0EA2554E
	v_mfma_f32_16x16x32_fp8_fp8 v[172:175], a[80:81], v[42:43], v[172:175]// 000000008930: D3F300AC 0EB25550
	ds_read_b128 a[72:75], v4                                  // 000000008938: DBFE0000 48000004
	ds_read_b128 a[76:79], v4 offset:256                       // 000000008940: DBFE0100 4C000004
	v_mfma_f32_16x16x32_fp8_fp8 v[176:179], a[82:83], v[42:43], v[176:179]// 000000008948: D3F300B0 0EC25552
	v_mfma_f32_16x16x32_fp8_fp8 v[180:183], a[84:85], v[42:43], v[180:183]// 000000008950: D3F300B4 0ED25554
	s_waitcnt lgkmcnt(2)                                       // 000000008958: BF8CC27F
	v_perm_b32 v32, v22, v20, s52                              // 00000000895C: D1ED0020 00D22916
	v_perm_b32 v33, v22, v20, s53                              // 000000008964: D1ED0021 00D62916
	v_perm_b32 v34, v23, v21, s52                              // 00000000896C: D1ED0022 00D22B17
	v_perm_b32 v35, v23, v21, s53                              // 000000008974: D1ED0023 00D62B17
	v_perm_b32 v28, v34, v32, s54                              // 00000000897C: D1ED001C 00DA4122
	v_perm_b32 v36, v34, v32, s55                              // 000000008984: D1ED0024 00DE4122
	v_perm_b32 v30, v35, v33, s54                              // 00000000898C: D1ED001E 00DA4323
	v_perm_b32 v38, v35, v33, s55                              // 000000008994: D1ED0026 00DE4323
	v_mfma_f32_16x16x32_fp8_fp8 v[184:187], a[86:87], v[42:43], v[184:187]// 00000000899C: D3F300B8 0EE25556
	v_mfma_f32_16x16x32_fp8_fp8 v[188:191], a[88:89], v[42:43], v[188:191]// 0000000089A4: D3F300BC 0EF25558
	v_perm_b32 v32, v26, v24, s52                              // 0000000089AC: D1ED0020 00D2311A
	v_perm_b32 v33, v26, v24, s53                              // 0000000089B4: D1ED0021 00D6311A
	v_perm_b32 v34, v27, v25, s52                              // 0000000089BC: D1ED0022 00D2331B
	v_perm_b32 v35, v27, v25, s53                              // 0000000089C4: D1ED0023 00D6331B
	v_perm_b32 v29, v34, v32, s54                              // 0000000089CC: D1ED001D 00DA4122
	v_perm_b32 v37, v34, v32, s55                              // 0000000089D4: D1ED0025 00DE4122
	v_perm_b32 v31, v35, v33, s54                              // 0000000089DC: D1ED001F 00DA4323
	v_perm_b32 v39, v35, v33, s55                              // 0000000089E4: D1ED0027 00DE4323
	v_mfma_f32_16x16x32_fp8_fp8 v[192:195], a[90:91], v[42:43], v[192:195]// 0000000089EC: D3F300C0 0F02555A
	v_mfma_f32_16x16x32_fp8_fp8 v[196:199], a[92:93], v[42:43], v[196:199]// 0000000089F4: D3F300C4 0F12555C
	ds_write_b128 v6, v[28:31] offset:37120                    // 0000000089FC: D9BE9100 00001C06
	v_mfma_f32_16x16x32_fp8_fp8 v[200:203], a[94:95], v[42:43], v[200:203]// 000000008A04: D3F300C8 0F22555E
	v_mfma_f32_16x16x32_fp8_fp8 v[204:207], a[96:97], v[42:43], v[204:207]// 000000008A0C: D3F300CC 0F325560
	ds_write_b128 v6, v[36:39] offset:38144                    // 000000008A14: D9BE9500 00002406
	v_mfma_f32_16x16x32_fp8_fp8 v[208:211], a[98:99], v[42:43], v[208:211]// 000000008A1C: D3F300D0 0F425562
	v_mfma_f32_16x16x32_fp8_fp8 v[212:215], a[100:101], v[42:43], v[212:215]// 000000008A24: D3F300D4 0F525564
	v_mfma_f32_16x16x32_fp8_fp8 v[216:219], a[102:103], v[42:43], v[216:219]// 000000008A2C: D3F300D8 0F625566
	v_mfma_f32_16x16x32_fp8_fp8 v[220:223], a[104:105], v[42:43], v[220:223]// 000000008A34: D3F300DC 0F725568
	ds_read_b32 v20, v5 offset:1024                            // 000000008A3C: D86C0400 14000005
	ds_read_b32 v21, v5 offset:5664                            // 000000008A44: D86C1620 15000005
	ds_read_b32 v22, v5 offset:10304                           // 000000008A4C: D86C2840 16000005
	ds_read_b32 v23, v5 offset:14944                           // 000000008A54: D86C3A60 17000005
	v_mfma_f32_16x16x32_fp8_fp8 v[224:227], a[106:107], v[42:43], v[224:227]// 000000008A5C: D3F300E0 0F82556A
	v_mfma_f32_16x16x32_fp8_fp8 v[228:231], a[108:109], v[42:43], v[228:231]// 000000008A64: D3F300E4 0F92556C
	ds_read_b32 v24, v5 offset:1152                            // 000000008A6C: D86C0480 18000005
	ds_read_b32 v25, v5 offset:5792                            // 000000008A74: D86C16A0 19000005
	ds_read_b32 v26, v5 offset:10432                           // 000000008A7C: D86C28C0 1A000005
	ds_read_b32 v27, v5 offset:15072                           // 000000008A84: D86C3AE0 1B000005
	v_mfma_f32_16x16x32_fp8_fp8 v[232:235], a[110:111], v[42:43], v[232:235]// 000000008A8C: D3F300E8 0FA2556E
	v_mfma_f32_16x16x32_fp8_fp8 v[236:239], a[112:113], v[42:43], v[236:239]// 000000008A94: D3F300EC 0FB25570
	ds_read_b128 a[80:83], v4 offset:512                       // 000000008A9C: DBFE0200 50000004
	ds_read_b128 a[84:87], v4 offset:768                       // 000000008AA4: DBFE0300 54000004
	v_mfma_f32_16x16x32_fp8_fp8 v[240:243], a[114:115], v[42:43], v[240:243]// 000000008AAC: D3F300F0 0FC25572
	v_mfma_f32_16x16x32_fp8_fp8 v[244:247], a[116:117], v[42:43], v[244:247]// 000000008AB4: D3F300F4 0FD25574
	v_mfma_f32_16x16x32_fp8_fp8 v[248:251], a[118:119], v[42:43], v[248:251]// 000000008ABC: D3F300F8 0FE25576
	v_mfma_f32_16x16x32_fp8_fp8 v[252:255], a[120:121], v[42:43], v[252:255]// 000000008AC4: D3F300FC 0FF25578
	ds_read_b128 a[88:91], v4 offset:1024                      // 000000008ACC: DBFE0400 58000004
	ds_read_b128 a[92:95], v4 offset:1280                      // 000000008AD4: DBFE0500 5C000004
	v_mfma_f32_16x16x32_fp8_fp8 a[172:175], a[122:123], v[42:43], a[172:175]// 000000008ADC: D3F380AC 0EB2557A
	v_mfma_f32_16x16x32_fp8_fp8 a[176:179], a[124:125], v[42:43], a[176:179]// 000000008AE4: D3F380B0 0EC2557C
	v_mfma_f32_16x16x32_fp8_fp8 a[180:183], a[126:127], v[42:43], a[180:183]// 000000008AEC: D3F380B4 0ED2557E
	v_mfma_f32_16x16x32_fp8_fp8 a[184:187], a[128:129], v[42:43], a[184:187]// 000000008AF4: D3F380B8 0EE25580
	ds_read_b128 a[96:99], v4 offset:1536                      // 000000008AFC: DBFE0600 60000004
	ds_read_b128 a[100:103], v4 offset:1792                    // 000000008B04: DBFE0700 64000004
	v_mfma_f32_16x16x32_fp8_fp8 a[188:191], a[130:131], v[42:43], a[188:191]// 000000008B0C: D3F380BC 0EF25582
	v_mfma_f32_16x16x32_fp8_fp8 a[192:195], a[132:133], v[42:43], a[192:195]// 000000008B14: D3F380C0 0F025584
	v_mfma_f32_16x16x32_fp8_fp8 a[196:199], a[134:135], v[42:43], a[196:199]// 000000008B1C: D3F380C4 0F125586
	s_nop 0                                                    // 000000008B24: BF800000
	s_addk_i32 s70, 0x1                                        // 000000008B28: B7460001
	s_cmp_lt_i32 s70, s71                                      // 000000008B2C: BF044746
	s_cbranch_scc0 label_0FD6                                  // 000000008B30: BF84F5C9
	s_branch label_0FD9                                        // 000000008B34: BF82F5CB

0000000000008b38 <label_1A0E>:
	s_cmp_eq_i32 s48, 0                                        // 000000008B38: BF008030
	s_cbranch_scc1 label_23DF                                  // 000000008B3C: BF8509CF

0000000000008b40 <label_1A10>:
	s_and_b32 s56, s71, 1                                      // 000000008B40: 86388147
	s_cmp_eq_i32 s56, 1                                        // 000000008B44: BF008138
	s_cbranch_scc1 label_1EF9                                  // 000000008B48: BF8504E6
	s_waitcnt lgkmcnt(4)                                       // 000000008B4C: BF8CC47F
	v_mfma_f32_16x16x32_fp8_fp8 v[40:43], a[72:73], a[0:1], 0  // 000000008B50: D3F30028 1A020148
	ds_read_b128 a[104:107], v4 offset:2048                    // 000000008B58: DBFE0800 68000004
	ds_read_b128 a[108:111], v4 offset:128                     // 000000008B60: DBFE0080 6C000004
	v_mfma_f32_16x16x32_fp8_fp8 v[40:43], a[74:75], a[2:3], v[40:43]// 000000008B68: D3F30028 1CA2054A
	v_mfma_f32_16x16x32_fp8_fp8 v[40:43], a[76:77], a[4:5], v[40:43]// 000000008B70: D3F30028 1CA2094C
	v_mfma_f32_16x16x32_fp8_fp8 v[40:43], a[78:79], a[6:7], v[40:43]// 000000008B78: D3F30028 1CA20D4E
	v_mfma_f32_16x16x32_fp8_fp8 v[40:43], a[80:81], a[8:9], v[40:43]// 000000008B80: D3F30028 1CA21150
	ds_read_b128 a[112:115], v4 offset:384                     // 000000008B88: DBFE0180 70000004
	ds_read_b128 a[116:119], v4 offset:640                     // 000000008B90: DBFE0280 74000004
	v_mfma_f32_16x16x32_fp8_fp8 v[40:43], a[82:83], a[10:11], v[40:43]// 000000008B98: D3F30028 1CA21552
	v_mfma_f32_16x16x32_fp8_fp8 v[40:43], a[84:85], a[12:13], v[40:43]// 000000008BA0: D3F30028 1CA21954
	v_mfma_f32_16x16x32_fp8_fp8 v[40:43], a[86:87], a[14:15], v[40:43]// 000000008BA8: D3F30028 1CA21D56
	s_waitcnt lgkmcnt(4)                                       // 000000008BB0: BF8CC47F
	v_mfma_f32_16x16x32_fp8_fp8 v[40:43], a[88:89], a[16:17], v[40:43]// 000000008BB4: D3F30028 1CA22158
	ds_read_b128 a[120:123], v4 offset:896                     // 000000008BBC: DBFE0380 78000004
	ds_read_b128 a[124:127], v4 offset:1152                    // 000000008BC4: DBFE0480 7C000004
	v_mfma_f32_16x16x32_fp8_fp8 v[40:43], a[90:91], a[18:19], v[40:43]// 000000008BCC: D3F30028 1CA2255A
	v_mfma_f32_16x16x32_fp8_fp8 v[40:43], a[92:93], a[20:21], v[40:43]// 000000008BD4: D3F30028 1CA2295C
	v_mfma_f32_16x16x32_fp8_fp8 v[40:43], a[94:95], a[22:23], v[40:43]// 000000008BDC: D3F30028 1CA22D5E
	v_mfma_f32_16x16x32_fp8_fp8 v[40:43], a[96:97], a[24:25], v[40:43]// 000000008BE4: D3F30028 1CA23160
	ds_read_b128 a[128:131], v4 offset:1408                    // 000000008BEC: DBFE0580 80000004
	ds_read_b128 a[132:135], v4 offset:1664                    // 000000008BF4: DBFE0680 84000004
	v_mfma_f32_16x16x32_fp8_fp8 v[40:43], a[98:99], a[26:27], v[40:43]// 000000008BFC: D3F30028 1CA23562
	v_mfma_f32_16x16x32_fp8_fp8 v[40:43], a[100:101], a[28:29], v[40:43]// 000000008C04: D3F30028 1CA23964
	v_mfma_f32_16x16x32_fp8_fp8 v[40:43], a[102:103], a[30:31], v[40:43]// 000000008C0C: D3F30028 1CA23D66
	s_waitcnt lgkmcnt(4)                                       // 000000008C14: BF8CC47F
	s_barrier                                                  // 000000008C18: BF8A0000
	v_mfma_f32_16x16x32_fp8_fp8 v[40:43], a[104:105], a[32:33], v[40:43]// 000000008C1C: D3F30028 1CA24168
	ds_read_b128 a[136:139], v4 offset:1920                    // 000000008C24: DBFE0780 88000004
	ds_read_b128 a[140:143], v4 offset:2176                    // 000000008C2C: DBFE0880 8C000004
	v_mfma_f32_16x16x32_fp8_fp8 v[40:43], a[106:107], a[34:35], v[40:43]// 000000008C34: D3F30028 1CA2456A
	v_mfma_f32_16x16x32_fp8_fp8 v[44:47], a[108:109], a[0:1], 0// 000000008C3C: D3F3002C 1A02016C
	v_perm_b32 v32, v22, v20, s52                              // 000000008C44: D1ED0020 00D22916
	v_perm_b32 v33, v22, v20, s53                              // 000000008C4C: D1ED0021 00D62916
	v_perm_b32 v34, v23, v21, s52                              // 000000008C54: D1ED0022 00D22B17
	v_perm_b32 v35, v23, v21, s53                              // 000000008C5C: D1ED0023 00D62B17
	v_perm_b32 v28, v34, v32, s54                              // 000000008C64: D1ED001C 00DA4122
	v_perm_b32 v36, v34, v32, s55                              // 000000008C6C: D1ED0024 00DE4122
	v_perm_b32 v30, v35, v33, s54                              // 000000008C74: D1ED001E 00DA4323
	v_perm_b32 v38, v35, v33, s55                              // 000000008C7C: D1ED0026 00DE4323
	v_mfma_f32_16x16x32_fp8_fp8 v[44:47], a[110:111], a[2:3], v[44:47]// 000000008C84: D3F3002C 1CB2056E
	v_mfma_f32_16x16x32_fp8_fp8 v[44:47], a[112:113], a[4:5], v[44:47]// 000000008C8C: D3F3002C 1CB20970
	v_perm_b32 v32, v26, v24, s52                              // 000000008C94: D1ED0020 00D2311A
	v_perm_b32 v33, v26, v24, s53                              // 000000008C9C: D1ED0021 00D6311A
	v_perm_b32 v34, v27, v25, s52                              // 000000008CA4: D1ED0022 00D2331B
	v_perm_b32 v35, v27, v25, s53                              // 000000008CAC: D1ED0023 00D6331B
	v_perm_b32 v29, v34, v32, s54                              // 000000008CB4: D1ED001D 00DA4122
	v_perm_b32 v37, v34, v32, s55                              // 000000008CBC: D1ED0025 00DE4122
	v_perm_b32 v31, v35, v33, s54                              // 000000008CC4: D1ED001F 00DA4323
	v_perm_b32 v39, v35, v33, s55                              // 000000008CCC: D1ED0027 00DE4323
	v_mfma_f32_16x16x32_fp8_fp8 v[44:47], a[114:115], a[6:7], v[44:47]// 000000008CD4: D3F3002C 1CB20D72
	v_mfma_f32_16x16x32_fp8_fp8 v[44:47], a[116:117], a[8:9], v[44:47]// 000000008CDC: D3F3002C 1CB21174
	ds_write_b128 v6, v[28:31] offset:45312                    // 000000008CE4: D9BEB100 00001C06
	v_mfma_f32_16x16x32_fp8_fp8 v[44:47], a[118:119], a[10:11], v[44:47]// 000000008CEC: D3F3002C 1CB21576
	s_waitcnt lgkmcnt(1)                                       // 000000008CF4: BF8CC17F
	v_mfma_f32_16x16x32_fp8_fp8 v[44:47], a[120:121], a[12:13], v[44:47]// 000000008CF8: D3F3002C 1CB21978
	ds_write_b128 v6, v[36:39] offset:46336                    // 000000008D00: D9BEB500 00002406
	v_mfma_f32_16x16x32_fp8_fp8 v[44:47], a[122:123], a[14:15], v[44:47]// 000000008D08: D3F3002C 1CB21D7A
	v_mfma_f32_16x16x32_fp8_fp8 v[44:47], a[124:125], a[16:17], v[44:47]// 000000008D10: D3F3002C 1CB2217C
	v_mfma_f32_16x16x32_fp8_fp8 v[44:47], a[126:127], a[18:19], v[44:47]// 000000008D18: D3F3002C 1CB2257E
	v_mfma_f32_16x16x32_fp8_fp8 v[44:47], a[128:129], a[20:21], v[44:47]// 000000008D20: D3F3002C 1CB22980
	v_mfma_f32_16x16x32_fp8_fp8 v[44:47], a[130:131], a[22:23], v[44:47]// 000000008D28: D3F3002C 1CB22D82
	v_mfma_f32_16x16x32_fp8_fp8 v[44:47], a[132:133], a[24:25], v[44:47]// 000000008D30: D3F3002C 1CB23184
	v_mfma_f32_16x16x32_fp8_fp8 v[44:47], a[134:135], a[26:27], v[44:47]// 000000008D38: D3F3002C 1CB23586
	v_mfma_f32_16x16x32_fp8_fp8 v[44:47], a[136:137], a[28:29], v[44:47]// 000000008D40: D3F3002C 1CB23988
	v_mfma_f32_16x16x32_fp8_fp8 v[44:47], a[138:139], a[30:31], v[44:47]// 000000008D48: D3F3002C 1CB23D8A
	v_mfma_f32_16x16x32_fp8_fp8 v[44:47], a[140:141], a[32:33], v[44:47]// 000000008D50: D3F3002C 1CB2418C
	v_mfma_f32_16x16x32_fp8_fp8 v[44:47], a[142:143], a[34:35], v[44:47]// 000000008D58: D3F3002C 1CB2458E
	s_cmp_le_i32 s83, s82                                      // 000000008D60: BF055253
	s_cbranch_scc1 label_1AD4                                  // 000000008D64: BF85003A
	v_mov_b32_e32 v25, 0xff800000                              // 000000008D68: 7E3202FF FF800000
	v_mov_b32_e32 v24, s82                                     // 000000008D70: 7E300252
	s_sub_u32 s56, s83, 31                                     // 000000008D74: 80B89F53
	v_lshrrev_b32_e32 v20, 4, v0                               // 000000008D78: 20280084
	v_mul_i32_i24_e32 v20, 4, v20                              // 000000008D7C: 0C282884
	v_add_u32_e32 v20, s56, v20                                // 000000008D80: 68282838
	v_add_u32_e32 v21, 1, v20                                  // 000000008D84: 682A2881
	v_add_u32_e32 v22, 2, v20                                  // 000000008D88: 682C2882
	v_add_u32_e32 v23, 3, v20                                  // 000000008D8C: 682E2883
	v_cmp_le_u32_e64 s[38:39], v20, v24                        // 000000008D90: D0CB0026 00023114
	v_add_u32_e32 v20, 16, v20                                 // 000000008D98: 68282890
	s_nop 0                                                    // 000000008D9C: BF800000
	v_cndmask_b32_e64 v40, v25, v40, s[38:39]                  // 000000008DA0: D1000028 009A5119
	v_cmp_le_u32_e64 s[38:39], v21, v24                        // 000000008DA8: D0CB0026 00023115
	v_add_u32_e32 v21, 16, v21                                 // 000000008DB0: 682A2A90
	s_nop 0                                                    // 000000008DB4: BF800000
	v_cndmask_b32_e64 v41, v25, v41, s[38:39]                  // 000000008DB8: D1000029 009A5319
	v_cmp_le_u32_e64 s[38:39], v22, v24                        // 000000008DC0: D0CB0026 00023116
	v_add_u32_e32 v22, 16, v22                                 // 000000008DC8: 682C2C90
	s_nop 0                                                    // 000000008DCC: BF800000
	v_cndmask_b32_e64 v42, v25, v42, s[38:39]                  // 000000008DD0: D100002A 009A5519
	v_cmp_le_u32_e64 s[38:39], v23, v24                        // 000000008DD8: D0CB0026 00023117
	v_add_u32_e32 v23, 16, v23                                 // 000000008DE0: 682E2E90
	s_nop 0                                                    // 000000008DE4: BF800000
	v_cndmask_b32_e64 v43, v25, v43, s[38:39]                  // 000000008DE8: D100002B 009A5719
	v_cmp_le_u32_e64 s[38:39], v20, v24                        // 000000008DF0: D0CB0026 00023114
	v_add_u32_e32 v20, 16, v20                                 // 000000008DF8: 68282890
	s_nop 0                                                    // 000000008DFC: BF800000
	v_cndmask_b32_e64 v44, v25, v44, s[38:39]                  // 000000008E00: D100002C 009A5919
	v_cmp_le_u32_e64 s[38:39], v21, v24                        // 000000008E08: D0CB0026 00023115
	v_add_u32_e32 v21, 16, v21                                 // 000000008E10: 682A2A90
	s_nop 0                                                    // 000000008E14: BF800000
	v_cndmask_b32_e64 v45, v25, v45, s[38:39]                  // 000000008E18: D100002D 009A5B19
	v_cmp_le_u32_e64 s[38:39], v22, v24                        // 000000008E20: D0CB0026 00023116
	v_add_u32_e32 v22, 16, v22                                 // 000000008E28: 682C2C90
	s_nop 0                                                    // 000000008E2C: BF800000
	v_cndmask_b32_e64 v46, v25, v46, s[38:39]                  // 000000008E30: D100002E 009A5D19
	v_cmp_le_u32_e64 s[38:39], v23, v24                        // 000000008E38: D0CB0026 00023117
	v_add_u32_e32 v23, 16, v23                                 // 000000008E40: 682E2E90
	s_nop 0                                                    // 000000008E44: BF800000
	v_cndmask_b32_e64 v47, v25, v47, s[38:39]                  // 000000008E48: D100002F 009A5F19

0000000000008e50 <label_1AD4>:
	s_waitcnt lgkmcnt(0)                                       // 000000008E50: BF8CC07F
	s_barrier                                                  // 000000008E54: BF8A0000
	v_mov_b32_e32 v25, 0xff800000                              // 000000008E58: 7E3202FF FF800000
	s_and_b32 s56, s48, 0xff                                   // 000000008E60: 8638FF30 000000FF
	v_mov_b32_e32 v24, s56                                     // 000000008E68: 7E300238
	v_lshrrev_b32_e32 v20, 4, v0                               // 000000008E6C: 20280084
	v_mul_i32_i24_e32 v20, 4, v20                              // 000000008E70: 0C282884
	v_add_u32_e32 v21, 1, v20                                  // 000000008E74: 682A2881
	v_add_u32_e32 v22, 2, v20                                  // 000000008E78: 682C2882
	v_add_u32_e32 v23, 3, v20                                  // 000000008E7C: 682E2883
	v_cmp_lt_u32_e64 s[38:39], v20, v24                        // 000000008E80: D0C90026 00023114
	v_add_u32_e32 v20, 16, v20                                 // 000000008E88: 68282890
	s_nop 0                                                    // 000000008E8C: BF800000
	v_cndmask_b32_e64 v40, v25, v40, s[38:39]                  // 000000008E90: D1000028 009A5119
	v_cmp_lt_u32_e64 s[38:39], v21, v24                        // 000000008E98: D0C90026 00023115
	v_add_u32_e32 v21, 16, v21                                 // 000000008EA0: 682A2A90
	s_nop 0                                                    // 000000008EA4: BF800000
	v_cndmask_b32_e64 v41, v25, v41, s[38:39]                  // 000000008EA8: D1000029 009A5319
	v_cmp_lt_u32_e64 s[38:39], v22, v24                        // 000000008EB0: D0C90026 00023116
	v_add_u32_e32 v22, 16, v22                                 // 000000008EB8: 682C2C90
	s_nop 0                                                    // 000000008EBC: BF800000
	v_cndmask_b32_e64 v42, v25, v42, s[38:39]                  // 000000008EC0: D100002A 009A5519
	v_cmp_lt_u32_e64 s[38:39], v23, v24                        // 000000008EC8: D0C90026 00023117
	v_add_u32_e32 v23, 16, v23                                 // 000000008ED0: 682E2E90
	s_nop 0                                                    // 000000008ED4: BF800000
	v_cndmask_b32_e64 v43, v25, v43, s[38:39]                  // 000000008ED8: D100002B 009A5719
	v_cmp_lt_u32_e64 s[38:39], v20, v24                        // 000000008EE0: D0C90026 00023114
	v_add_u32_e32 v20, 16, v20                                 // 000000008EE8: 68282890
	s_nop 0                                                    // 000000008EEC: BF800000
	v_cndmask_b32_e64 v44, v25, v44, s[38:39]                  // 000000008EF0: D100002C 009A5919
	v_cmp_lt_u32_e64 s[38:39], v21, v24                        // 000000008EF8: D0C90026 00023115
	v_add_u32_e32 v21, 16, v21                                 // 000000008F00: 682A2A90
	s_nop 0                                                    // 000000008F04: BF800000
	v_cndmask_b32_e64 v45, v25, v45, s[38:39]                  // 000000008F08: D100002D 009A5B19
	v_cmp_lt_u32_e64 s[38:39], v22, v24                        // 000000008F10: D0C90026 00023116
	v_add_u32_e32 v22, 16, v22                                 // 000000008F18: 682C2C90
	s_nop 0                                                    // 000000008F1C: BF800000
	v_cndmask_b32_e64 v46, v25, v46, s[38:39]                  // 000000008F20: D100002E 009A5D19
	v_cmp_lt_u32_e64 s[38:39], v23, v24                        // 000000008F28: D0C90026 00023117
	v_add_u32_e32 v23, 16, v23                                 // 000000008F30: 682E2E90
	s_nop 0                                                    // 000000008F34: BF800000
	v_cndmask_b32_e64 v47, v25, v47, s[38:39]                  // 000000008F38: D100002F 009A5F19
	v_mfma_f32_16x16x32_fp8_fp8 v[48:51], a[72:73], a[36:37], 0// 000000008F40: D3F30030 1A024948
	v_mfma_f32_16x16x32_fp8_fp8 v[48:51], a[74:75], a[38:39], v[48:51]// 000000008F48: D3F30030 1CC24D4A
	v_max3_f32 v24, v40, v41, v40                              // 000000008F50: D1D30018 04A25328
	v_max3_f32 v24, v42, v43, v24                              // 000000008F58: D1D30018 0462572A
	v_max3_f32 v24, v44, v45, v24                              // 000000008F60: D1D30018 04625B2C
	v_max3_f32 v24, v46, v47, v24                              // 000000008F68: D1D30018 04625F2E
	ds_write_b32 v3, v24 offset:53504                          // 000000008F70: D81AD100 00001803
	v_mfma_f32_16x16x32_fp8_fp8 v[48:51], a[76:77], a[40:41], v[48:51]// 000000008F78: D3F30030 1CC2514C
	v_mfma_f32_16x16x32_fp8_fp8 v[48:51], a[78:79], a[42:43], v[48:51]// 000000008F80: D3F30030 1CC2554E
	v_mfma_f32_16x16x32_fp8_fp8 v[48:51], a[80:81], a[44:45], v[48:51]// 000000008F88: D3F30030 1CC25950
	v_mfma_f32_16x16x32_fp8_fp8 v[48:51], a[82:83], a[46:47], v[48:51]// 000000008F90: D3F30030 1CC25D52
	v_mfma_f32_16x16x32_fp8_fp8 v[48:51], a[84:85], a[48:49], v[48:51]// 000000008F98: D3F30030 1CC26154
	s_waitcnt lgkmcnt(0)                                       // 000000008FA0: BF8CC07F
	ds_read_b32 v20, v2 offset:53504                           // 000000008FA4: D86CD100 14000002
	ds_read_b32 v21, v2 offset:53568                           // 000000008FAC: D86CD140 15000002
	v_mfma_f32_16x16x32_fp8_fp8 v[48:51], a[86:87], a[50:51], v[48:51]// 000000008FB4: D3F30030 1CC26556
	ds_read_b32 v22, v2 offset:53632                           // 000000008FBC: D86CD180 16000002
	ds_read_b32 v23, v2 offset:53696                           // 000000008FC4: D86CD1C0 17000002
	v_mfma_f32_16x16x32_fp8_fp8 v[48:51], a[88:89], a[52:53], v[48:51]// 000000008FCC: D3F30030 1CC26958
	v_mfma_f32_16x16x32_fp8_fp8 v[48:51], a[90:91], a[54:55], v[48:51]// 000000008FD4: D3F30030 1CC26D5A
	v_mfma_f32_16x16x32_fp8_fp8 v[48:51], a[92:93], a[56:57], v[48:51]// 000000008FDC: D3F30030 1CC2715C
	v_mfma_f32_16x16x32_fp8_fp8 v[48:51], a[94:95], a[58:59], v[48:51]// 000000008FE4: D3F30030 1CC2755E
	v_mfma_f32_16x16x32_fp8_fp8 v[48:51], a[96:97], a[60:61], v[48:51]// 000000008FEC: D3F30030 1CC27960
	v_mfma_f32_16x16x32_fp8_fp8 v[48:51], a[98:99], a[62:63], v[48:51]// 000000008FF4: D3F30030 1CC27D62
	v_mfma_f32_16x16x32_fp8_fp8 v[48:51], a[100:101], a[64:65], v[48:51]// 000000008FFC: D3F30030 1CC28164
	s_waitcnt lgkmcnt(0)                                       // 000000009004: BF8CC07F
	v_max3_f32 v24, v20, v21, v24                              // 000000009008: D1D30018 04622B14
	v_max3_f32 v24, v22, v23, v24                              // 000000009010: D1D30018 04622F16
	v_mfma_f32_16x16x32_fp8_fp8 v[48:51], a[102:103], a[66:67], v[48:51]// 000000009018: D3F30030 1CC28566
	v_mfma_f32_16x16x32_fp8_fp8 v[48:51], a[104:105], a[68:69], v[48:51]// 000000009020: D3F30030 1CC28968
	v_mfma_f32_16x16x32_fp8_fp8 v[48:51], a[106:107], a[70:71], v[48:51]// 000000009028: D3F30030 1CC28D6A
	v_mfma_f32_16x16x32_fp8_fp8 v[52:55], a[108:109], a[36:37], 0// 000000009030: D3F30034 1A02496C
	v_mfma_f32_16x16x32_fp8_fp8 v[52:55], a[110:111], a[38:39], v[52:55]// 000000009038: D3F30034 1CD24D6E
	v_mfma_f32_16x16x32_fp8_fp8 v[52:55], a[112:113], a[40:41], v[52:55]// 000000009040: D3F30034 1CD25170
	ds_read_b128 a[72:75], v7 offset:37120                     // 000000009048: DBFE9100 48000007
	ds_read_b128 a[76:79], v7 offset:38144                     // 000000009050: DBFE9500 4C000007
	v_mfma_f32_16x16x32_fp8_fp8 v[52:55], a[114:115], a[42:43], v[52:55]// 000000009058: D3F30034 1CD25572
	v_mfma_f32_16x16x32_fp8_fp8 v[52:55], a[116:117], a[44:45], v[52:55]// 000000009060: D3F30034 1CD25974
	v_mfma_f32_16x16x32_fp8_fp8 v[52:55], a[118:119], a[46:47], v[52:55]// 000000009068: D3F30034 1CD25D76
	v_mfma_f32_16x16x32_fp8_fp8 v[52:55], a[120:121], a[48:49], v[52:55]// 000000009070: D3F30034 1CD26178
	ds_read_b128 a[80:83], v7 offset:39168                     // 000000009078: DBFE9900 50000007
	ds_read_b128 a[84:87], v7 offset:40192                     // 000000009080: DBFE9D00 54000007
	v_mfma_f32_16x16x32_fp8_fp8 v[52:55], a[122:123], a[50:51], v[52:55]// 000000009088: D3F30034 1CD2657A
	v_mfma_f32_16x16x32_fp8_fp8 v[52:55], a[124:125], a[52:53], v[52:55]// 000000009090: D3F30034 1CD2697C
	v_mfma_f32_16x16x32_fp8_fp8 v[52:55], a[126:127], a[54:55], v[52:55]// 000000009098: D3F30034 1CD26D7E
	v_mfma_f32_16x16x32_fp8_fp8 v[52:55], a[128:129], a[56:57], v[52:55]// 0000000090A0: D3F30034 1CD27180
	ds_read_b128 a[88:91], v7 offset:41216                     // 0000000090A8: DBFEA100 58000007
	ds_read_b128 a[92:95], v7 offset:42240                     // 0000000090B0: DBFEA500 5C000007
	v_mfma_f32_16x16x32_fp8_fp8 v[52:55], a[130:131], a[58:59], v[52:55]// 0000000090B8: D3F30034 1CD27582
	v_mfma_f32_16x16x32_fp8_fp8 v[52:55], a[132:133], a[60:61], v[52:55]// 0000000090C0: D3F30034 1CD27984
	v_mfma_f32_16x16x32_fp8_fp8 v[52:55], a[134:135], a[62:63], v[52:55]// 0000000090C8: D3F30034 1CD27D86
	v_mfma_f32_16x16x32_fp8_fp8 v[52:55], a[136:137], a[64:65], v[52:55]// 0000000090D0: D3F30034 1CD28188
	ds_read_b128 a[96:99], v7 offset:43264                     // 0000000090D8: DBFEA900 60000007
	ds_read_b128 a[100:103], v7 offset:44288                   // 0000000090E0: DBFEAD00 64000007
	v_mfma_f32_16x16x32_fp8_fp8 v[52:55], a[138:139], a[66:67], v[52:55]// 0000000090E8: D3F30034 1CD2858A
	v_mfma_f32_16x16x32_fp8_fp8 v[52:55], a[140:141], a[68:69], v[52:55]// 0000000090F0: D3F30034 1CD2898C
	v_mfma_f32_16x16x32_fp8_fp8 v[52:55], a[142:143], a[70:71], v[52:55]// 0000000090F8: D3F30034 1CD28D8E
	v_mov_b32_e32 v25, 0xff7fffff                              // 000000009100: 7E3202FF FF7FFFFF
	v_cmp_eq_u32_e64 s[38:39], v25, v12                        // 000000009108: D0CA0026 00021919
	v_max_f32_e32 v20, v24, v12                                // 000000009110: 16281918
	v_sub_f32_e32 v16, v12, v20                                // 000000009114: 0420290C
	v_cndmask_b32_e64 v16, v16, 0, s[38:39]                    // 000000009118: D1000010 00990110
	v_mov_b32_e32 v12, v20                                     // 000000009120: 7E180314
	v_mul_f32_e32 v21, s5, v20                                 // 000000009124: 0A2A2805
	v_mul_f32_e32 v16, s5, v16                                 // 000000009128: 0A202005
	v_exp_f32_e32 v16, v16                                     // 00000000912C: 7E204110
	v_fma_f32 v40, v40, s5, -v21                               // 000000009130: D1CB0028 84540B28
	v_fma_f32 v41, v41, s5, -v21                               // 000000009138: D1CB0029 84540B29
	v_fma_f32 v42, v42, s5, -v21                               // 000000009140: D1CB002A 84540B2A
	v_fma_f32 v43, v43, s5, -v21                               // 000000009148: D1CB002B 84540B2B
	v_fma_f32 v44, v44, s5, -v21                               // 000000009150: D1CB002C 84540B2C
	v_fma_f32 v45, v45, s5, -v21                               // 000000009158: D1CB002D 84540B2D
	v_fma_f32 v46, v46, s5, -v21                               // 000000009160: D1CB002E 84540B2E
	v_fma_f32 v47, v47, s5, -v21                               // 000000009168: D1CB002F 84540B2F
	v_exp_f32_e32 v40, v40                                     // 000000009170: 7E504128
	v_exp_f32_e32 v41, v41                                     // 000000009174: 7E524129
	v_exp_f32_e32 v42, v42                                     // 000000009178: 7E54412A
	v_exp_f32_e32 v43, v43                                     // 00000000917C: 7E56412B
	v_exp_f32_e32 v44, v44                                     // 000000009180: 7E58412C
	v_exp_f32_e32 v45, v45                                     // 000000009184: 7E5A412D
	v_exp_f32_e32 v46, v46                                     // 000000009188: 7E5C412E
	v_exp_f32_e32 v47, v47                                     // 00000000918C: 7E5E412F
	v_mul_f32_e32 v14, v16, v14                                // 000000009190: 0A1C1D10
	v_mov_b32_e32 v22, v40                                     // 000000009194: 7E2C0328
	v_add_f32_e32 v22, v41, v22                                // 000000009198: 022C2D29
	v_add_f32_e32 v22, v42, v22                                // 00000000919C: 022C2D2A
	v_add_f32_e32 v22, v43, v22                                // 0000000091A0: 022C2D2B
	v_add_f32_e32 v22, v44, v22                                // 0000000091A4: 022C2D2C
	v_add_f32_e32 v22, v45, v22                                // 0000000091A8: 022C2D2D
	v_add_f32_e32 v22, v46, v22                                // 0000000091AC: 022C2D2E
	v_add_f32_e32 v22, v47, v22                                // 0000000091B0: 022C2D2F
	v_add_f32_e32 v14, v22, v14                                // 0000000091B4: 021C1D16
	v_cvt_pk_fp8_f32 v40, v40, v41                             // 0000000091B8: D2A20028 00025328
	v_cvt_pk_fp8_f32 v40, v42, v43 op_sel:[0,0,1]              // 0000000091C0: D2A24028 0002572A
	v_cvt_pk_fp8_f32 v41, v44, v45                             // 0000000091C8: D2A20029 00025B2C
	v_cvt_pk_fp8_f32 v41, v46, v47 op_sel:[0,0,1]              // 0000000091D0: D2A24029 00025F2E
	s_nop 0                                                    // 0000000091D8: BF800000
	s_cmp_le_i32 s83, s82                                      // 0000000091DC: BF055253
	s_cbranch_scc1 label_1BF3                                  // 0000000091E0: BF85003A
	v_mov_b32_e32 v25, 0xff800000                              // 0000000091E4: 7E3202FF FF800000
	v_mov_b32_e32 v24, s82                                     // 0000000091EC: 7E300252
	s_sub_u32 s56, s83, 31                                     // 0000000091F0: 80B89F53
	v_lshrrev_b32_e32 v20, 4, v0                               // 0000000091F4: 20280084
	v_mul_i32_i24_e32 v20, 4, v20                              // 0000000091F8: 0C282884
	v_add_u32_e32 v20, s56, v20                                // 0000000091FC: 68282838
	v_add_u32_e32 v21, 1, v20                                  // 000000009200: 682A2881
	v_add_u32_e32 v22, 2, v20                                  // 000000009204: 682C2882
	v_add_u32_e32 v23, 3, v20                                  // 000000009208: 682E2883
	v_cmp_le_u32_e64 s[38:39], v20, v24                        // 00000000920C: D0CB0026 00023114
	v_add_u32_e32 v20, 16, v20                                 // 000000009214: 68282890
	s_nop 0                                                    // 000000009218: BF800000
	v_cndmask_b32_e64 v48, v25, v48, s[38:39]                  // 00000000921C: D1000030 009A6119
	v_cmp_le_u32_e64 s[38:39], v21, v24                        // 000000009224: D0CB0026 00023115
	v_add_u32_e32 v21, 16, v21                                 // 00000000922C: 682A2A90
	s_nop 0                                                    // 000000009230: BF800000
	v_cndmask_b32_e64 v49, v25, v49, s[38:39]                  // 000000009234: D1000031 009A6319
	v_cmp_le_u32_e64 s[38:39], v22, v24                        // 00000000923C: D0CB0026 00023116
	v_add_u32_e32 v22, 16, v22                                 // 000000009244: 682C2C90
	s_nop 0                                                    // 000000009248: BF800000
	v_cndmask_b32_e64 v50, v25, v50, s[38:39]                  // 00000000924C: D1000032 009A6519
	v_cmp_le_u32_e64 s[38:39], v23, v24                        // 000000009254: D0CB0026 00023117
	v_add_u32_e32 v23, 16, v23                                 // 00000000925C: 682E2E90
	s_nop 0                                                    // 000000009260: BF800000
	v_cndmask_b32_e64 v51, v25, v51, s[38:39]                  // 000000009264: D1000033 009A6719
	v_cmp_le_u32_e64 s[38:39], v20, v24                        // 00000000926C: D0CB0026 00023114
	v_add_u32_e32 v20, 16, v20                                 // 000000009274: 68282890
	s_nop 0                                                    // 000000009278: BF800000
	v_cndmask_b32_e64 v52, v25, v52, s[38:39]                  // 00000000927C: D1000034 009A6919
	v_cmp_le_u32_e64 s[38:39], v21, v24                        // 000000009284: D0CB0026 00023115
	v_add_u32_e32 v21, 16, v21                                 // 00000000928C: 682A2A90
	s_nop 0                                                    // 000000009290: BF800000
	v_cndmask_b32_e64 v53, v25, v53, s[38:39]                  // 000000009294: D1000035 009A6B19
	v_cmp_le_u32_e64 s[38:39], v22, v24                        // 00000000929C: D0CB0026 00023116
	v_add_u32_e32 v22, 16, v22                                 // 0000000092A4: 682C2C90
	s_nop 0                                                    // 0000000092A8: BF800000
	v_cndmask_b32_e64 v54, v25, v54, s[38:39]                  // 0000000092AC: D1000036 009A6D19
	v_cmp_le_u32_e64 s[38:39], v23, v24                        // 0000000092B4: D0CB0026 00023117
	v_add_u32_e32 v23, 16, v23                                 // 0000000092BC: 682E2E90
	s_nop 0                                                    // 0000000092C0: BF800000
	v_cndmask_b32_e64 v55, v25, v55, s[38:39]                  // 0000000092C4: D1000037 009A6F19

00000000000092cc <label_1BF3>:
	s_add_u32 s83, s84, s83                                    // 0000000092CC: 80535354
	s_nop 0                                                    // 0000000092D0: BF800000
	v_mov_b32_e32 v22, v16                                     // 0000000092D4: 7E2C0310
	v_mov_b32_e32 v23, v16                                     // 0000000092D8: 7E2E0310
	v_pk_mul_f32 v[56:57], v[22:23], v[56:57]                  // 0000000092DC: D3B14038 18027116
	v_pk_mul_f32 v[58:59], v[22:23], v[58:59]                  // 0000000092E4: D3B1403A 18027516
	v_pk_mul_f32 v[60:61], v[22:23], v[60:61]                  // 0000000092EC: D3B1403C 18027916
	v_pk_mul_f32 v[62:63], v[22:23], v[62:63]                  // 0000000092F4: D3B1403E 18027D16
	v_pk_mul_f32 v[64:65], v[22:23], v[64:65]                  // 0000000092FC: D3B14040 18028116
	v_pk_mul_f32 v[66:67], v[22:23], v[66:67]                  // 000000009304: D3B14042 18028516
	v_pk_mul_f32 v[68:69], v[22:23], v[68:69]                  // 00000000930C: D3B14044 18028916
	v_pk_mul_f32 v[70:71], v[22:23], v[70:71]                  // 000000009314: D3B14046 18028D16
	v_pk_mul_f32 v[72:73], v[22:23], v[72:73]                  // 00000000931C: D3B14048 18029116
	v_pk_mul_f32 v[74:75], v[22:23], v[74:75]                  // 000000009324: D3B1404A 18029516
	v_pk_mul_f32 v[76:77], v[22:23], v[76:77]                  // 00000000932C: D3B1404C 18029916
	v_pk_mul_f32 v[78:79], v[22:23], v[78:79]                  // 000000009334: D3B1404E 18029D16
	v_pk_mul_f32 v[80:81], v[22:23], v[80:81]                  // 00000000933C: D3B14050 1802A116
	v_pk_mul_f32 v[82:83], v[22:23], v[82:83]                  // 000000009344: D3B14052 1802A516
	v_pk_mul_f32 v[84:85], v[22:23], v[84:85]                  // 00000000934C: D3B14054 1802A916
	v_pk_mul_f32 v[86:87], v[22:23], v[86:87]                  // 000000009354: D3B14056 1802AD16
	v_pk_mul_f32 v[88:89], v[22:23], v[88:89]                  // 00000000935C: D3B14058 1802B116
	v_pk_mul_f32 v[90:91], v[22:23], v[90:91]                  // 000000009364: D3B1405A 1802B516
	v_pk_mul_f32 v[92:93], v[22:23], v[92:93]                  // 00000000936C: D3B1405C 1802B916
	v_pk_mul_f32 v[94:95], v[22:23], v[94:95]                  // 000000009374: D3B1405E 1802BD16
	v_pk_mul_f32 v[96:97], v[22:23], v[96:97]                  // 00000000937C: D3B14060 1802C116
	v_pk_mul_f32 v[98:99], v[22:23], v[98:99]                  // 000000009384: D3B14062 1802C516
	v_pk_mul_f32 v[100:101], v[22:23], v[100:101]              // 00000000938C: D3B14064 1802C916
	v_pk_mul_f32 v[102:103], v[22:23], v[102:103]              // 000000009394: D3B14066 1802CD16
	v_pk_mul_f32 v[104:105], v[22:23], v[104:105]              // 00000000939C: D3B14068 1802D116
	v_pk_mul_f32 v[106:107], v[22:23], v[106:107]              // 0000000093A4: D3B1406A 1802D516
	v_pk_mul_f32 v[108:109], v[22:23], v[108:109]              // 0000000093AC: D3B1406C 1802D916
	v_pk_mul_f32 v[110:111], v[22:23], v[110:111]              // 0000000093B4: D3B1406E 1802DD16
	v_pk_mul_f32 v[112:113], v[22:23], v[112:113]              // 0000000093BC: D3B14070 1802E116
	v_pk_mul_f32 v[114:115], v[22:23], v[114:115]              // 0000000093C4: D3B14072 1802E516
	v_pk_mul_f32 v[116:117], v[22:23], v[116:117]              // 0000000093CC: D3B14074 1802E916
	v_pk_mul_f32 v[118:119], v[22:23], v[118:119]              // 0000000093D4: D3B14076 1802ED16
	v_pk_mul_f32 v[120:121], v[22:23], v[120:121]              // 0000000093DC: D3B14078 1802F116
	v_pk_mul_f32 v[122:123], v[22:23], v[122:123]              // 0000000093E4: D3B1407A 1802F516
	v_pk_mul_f32 v[124:125], v[22:23], v[124:125]              // 0000000093EC: D3B1407C 1802F916
	v_pk_mul_f32 v[126:127], v[22:23], v[126:127]              // 0000000093F4: D3B1407E 1802FD16
	v_pk_mul_f32 v[128:129], v[22:23], v[128:129]              // 0000000093FC: D3B14080 18030116
	v_pk_mul_f32 v[130:131], v[22:23], v[130:131]              // 000000009404: D3B14082 18030516
	v_pk_mul_f32 v[132:133], v[22:23], v[132:133]              // 00000000940C: D3B14084 18030916
	v_pk_mul_f32 v[134:135], v[22:23], v[134:135]              // 000000009414: D3B14086 18030D16
	v_pk_mul_f32 v[136:137], v[22:23], v[136:137]              // 00000000941C: D3B14088 18031116
	v_pk_mul_f32 v[138:139], v[22:23], v[138:139]              // 000000009424: D3B1408A 18031516
	v_pk_mul_f32 v[140:141], v[22:23], v[140:141]              // 00000000942C: D3B1408C 18031916
	v_pk_mul_f32 v[142:143], v[22:23], v[142:143]              // 000000009434: D3B1408E 18031D16
	v_pk_mul_f32 v[144:145], v[22:23], v[144:145]              // 00000000943C: D3B14090 18032116
	v_pk_mul_f32 v[146:147], v[22:23], v[146:147]              // 000000009444: D3B14092 18032516
	v_pk_mul_f32 v[148:149], v[22:23], v[148:149]              // 00000000944C: D3B14094 18032916
	v_pk_mul_f32 v[150:151], v[22:23], v[150:151]              // 000000009454: D3B14096 18032D16
	v_pk_mul_f32 v[152:153], v[22:23], v[152:153]              // 00000000945C: D3B14098 18033116
	v_pk_mul_f32 v[154:155], v[22:23], v[154:155]              // 000000009464: D3B1409A 18033516
	v_accvgpr_read_b32 v20, a144                               // 00000000946C: D3D84014 18000190
	v_accvgpr_read_b32 v21, a145                               // 000000009474: D3D84015 18000191
	v_pk_mul_f32 v[20:21], v[22:23], v[20:21]                  // 00000000947C: D3B14014 18022916
	v_accvgpr_write_b32 a144, v20                              // 000000009484: D3D94090 18000114
	v_accvgpr_write_b32 a145, v21                              // 00000000948C: D3D94091 18000115
	v_accvgpr_read_b32 v20, a146                               // 000000009494: D3D84014 18000192
	v_accvgpr_read_b32 v21, a147                               // 00000000949C: D3D84015 18000193
	v_pk_mul_f32 v[20:21], v[22:23], v[20:21]                  // 0000000094A4: D3B14014 18022916
	v_accvgpr_write_b32 a146, v20                              // 0000000094AC: D3D94092 18000114
	v_accvgpr_write_b32 a147, v21                              // 0000000094B4: D3D94093 18000115
	v_accvgpr_read_b32 v20, a148                               // 0000000094BC: D3D84014 18000194
	v_accvgpr_read_b32 v21, a149                               // 0000000094C4: D3D84015 18000195
	v_pk_mul_f32 v[20:21], v[22:23], v[20:21]                  // 0000000094CC: D3B14014 18022916
	v_accvgpr_write_b32 a148, v20                              // 0000000094D4: D3D94094 18000114
	v_accvgpr_write_b32 a149, v21                              // 0000000094DC: D3D94095 18000115
	v_accvgpr_read_b32 v20, a150                               // 0000000094E4: D3D84014 18000196
	v_accvgpr_read_b32 v21, a151                               // 0000000094EC: D3D84015 18000197
	v_pk_mul_f32 v[20:21], v[22:23], v[20:21]                  // 0000000094F4: D3B14014 18022916
	v_accvgpr_write_b32 a150, v20                              // 0000000094FC: D3D94096 18000114
	v_accvgpr_write_b32 a151, v21                              // 000000009504: D3D94097 18000115
	v_accvgpr_read_b32 v20, a152                               // 00000000950C: D3D84014 18000198
	v_accvgpr_read_b32 v21, a153                               // 000000009514: D3D84015 18000199
	v_pk_mul_f32 v[20:21], v[22:23], v[20:21]                  // 00000000951C: D3B14014 18022916
	v_accvgpr_write_b32 a152, v20                              // 000000009524: D3D94098 18000114
	v_accvgpr_write_b32 a153, v21                              // 00000000952C: D3D94099 18000115
	v_accvgpr_read_b32 v20, a154                               // 000000009534: D3D84014 1800019A
	v_accvgpr_read_b32 v21, a155                               // 00000000953C: D3D84015 1800019B
	v_pk_mul_f32 v[20:21], v[22:23], v[20:21]                  // 000000009544: D3B14014 18022916
	v_accvgpr_write_b32 a154, v20                              // 00000000954C: D3D9409A 18000114
	v_accvgpr_write_b32 a155, v21                              // 000000009554: D3D9409B 18000115
	v_accvgpr_read_b32 v20, a156                               // 00000000955C: D3D84014 1800019C
	v_accvgpr_read_b32 v21, a157                               // 000000009564: D3D84015 1800019D
	v_pk_mul_f32 v[20:21], v[22:23], v[20:21]                  // 00000000956C: D3B14014 18022916
	v_accvgpr_write_b32 a156, v20                              // 000000009574: D3D9409C 18000114
	v_accvgpr_write_b32 a157, v21                              // 00000000957C: D3D9409D 18000115
	v_accvgpr_read_b32 v20, a158                               // 000000009584: D3D84014 1800019E
	v_accvgpr_read_b32 v21, a159                               // 00000000958C: D3D84015 1800019F
	v_pk_mul_f32 v[20:21], v[22:23], v[20:21]                  // 000000009594: D3B14014 18022916
	v_accvgpr_write_b32 a158, v20                              // 00000000959C: D3D9409E 18000114
	v_accvgpr_write_b32 a159, v21                              // 0000000095A4: D3D9409F 18000115
	v_accvgpr_read_b32 v20, a160                               // 0000000095AC: D3D84014 180001A0
	v_accvgpr_read_b32 v21, a161                               // 0000000095B4: D3D84015 180001A1
	v_pk_mul_f32 v[20:21], v[22:23], v[20:21]                  // 0000000095BC: D3B14014 18022916
	v_accvgpr_write_b32 a160, v20                              // 0000000095C4: D3D940A0 18000114
	v_accvgpr_write_b32 a161, v21                              // 0000000095CC: D3D940A1 18000115
	v_accvgpr_read_b32 v20, a162                               // 0000000095D4: D3D84014 180001A2
	v_accvgpr_read_b32 v21, a163                               // 0000000095DC: D3D84015 180001A3
	v_pk_mul_f32 v[20:21], v[22:23], v[20:21]                  // 0000000095E4: D3B14014 18022916
	v_accvgpr_write_b32 a162, v20                              // 0000000095EC: D3D940A2 18000114
	v_accvgpr_write_b32 a163, v21                              // 0000000095F4: D3D940A3 18000115
	v_accvgpr_read_b32 v20, a164                               // 0000000095FC: D3D84014 180001A4
	v_accvgpr_read_b32 v21, a165                               // 000000009604: D3D84015 180001A5
	v_pk_mul_f32 v[20:21], v[22:23], v[20:21]                  // 00000000960C: D3B14014 18022916
	v_accvgpr_write_b32 a164, v20                              // 000000009614: D3D940A4 18000114
	v_accvgpr_write_b32 a165, v21                              // 00000000961C: D3D940A5 18000115
	v_accvgpr_read_b32 v20, a166                               // 000000009624: D3D84014 180001A6
	v_accvgpr_read_b32 v21, a167                               // 00000000962C: D3D84015 180001A7
	v_pk_mul_f32 v[20:21], v[22:23], v[20:21]                  // 000000009634: D3B14014 18022916
	v_accvgpr_write_b32 a166, v20                              // 00000000963C: D3D940A6 18000114
	v_accvgpr_write_b32 a167, v21                              // 000000009644: D3D940A7 18000115
	v_accvgpr_read_b32 v20, a168                               // 00000000964C: D3D84014 180001A8
	v_accvgpr_read_b32 v21, a169                               // 000000009654: D3D84015 180001A9
	v_pk_mul_f32 v[20:21], v[22:23], v[20:21]                  // 00000000965C: D3B14014 18022916
	v_accvgpr_write_b32 a168, v20                              // 000000009664: D3D940A8 18000114
	v_accvgpr_write_b32 a169, v21                              // 00000000966C: D3D940A9 18000115
	v_accvgpr_read_b32 v20, a170                               // 000000009674: D3D84014 180001AA
	v_accvgpr_read_b32 v21, a171                               // 00000000967C: D3D84015 180001AB
	v_pk_mul_f32 v[20:21], v[22:23], v[20:21]                  // 000000009684: D3B14014 18022916
	v_accvgpr_write_b32 a170, v20                              // 00000000968C: D3D940AA 18000114
	v_accvgpr_write_b32 a171, v21                              // 000000009694: D3D940AB 18000115
	s_waitcnt lgkmcnt(0)                                       // 00000000969C: BF8CC07F
	v_mov_b32_e32 v25, 0xff800000                              // 0000000096A0: 7E3202FF FF800000
	s_and_b32 s56, s48, 0xff                                   // 0000000096A8: 8638FF30 000000FF
	v_mov_b32_e32 v24, s56                                     // 0000000096B0: 7E300238
	v_lshrrev_b32_e32 v20, 4, v0                               // 0000000096B4: 20280084
	v_mul_i32_i24_e32 v20, 4, v20                              // 0000000096B8: 0C282884
	v_add_u32_e32 v21, 1, v20                                  // 0000000096BC: 682A2881
	v_add_u32_e32 v22, 2, v20                                  // 0000000096C0: 682C2882
	v_add_u32_e32 v23, 3, v20                                  // 0000000096C4: 682E2883
	v_cmp_lt_u32_e64 s[38:39], v20, v24                        // 0000000096C8: D0C90026 00023114
	v_add_u32_e32 v20, 16, v20                                 // 0000000096D0: 68282890
	s_nop 0                                                    // 0000000096D4: BF800000
	v_cndmask_b32_e64 v48, v25, v48, s[38:39]                  // 0000000096D8: D1000030 009A6119
	v_cmp_lt_u32_e64 s[38:39], v21, v24                        // 0000000096E0: D0C90026 00023115
	v_add_u32_e32 v21, 16, v21                                 // 0000000096E8: 682A2A90
	s_nop 0                                                    // 0000000096EC: BF800000
	v_cndmask_b32_e64 v49, v25, v49, s[38:39]                  // 0000000096F0: D1000031 009A6319
	v_cmp_lt_u32_e64 s[38:39], v22, v24                        // 0000000096F8: D0C90026 00023116
	v_add_u32_e32 v22, 16, v22                                 // 000000009700: 682C2C90
	s_nop 0                                                    // 000000009704: BF800000
	v_cndmask_b32_e64 v50, v25, v50, s[38:39]                  // 000000009708: D1000032 009A6519
	v_cmp_lt_u32_e64 s[38:39], v23, v24                        // 000000009710: D0C90026 00023117
	v_add_u32_e32 v23, 16, v23                                 // 000000009718: 682E2E90
	s_nop 0                                                    // 00000000971C: BF800000
	v_cndmask_b32_e64 v51, v25, v51, s[38:39]                  // 000000009720: D1000033 009A6719
	v_cmp_lt_u32_e64 s[38:39], v20, v24                        // 000000009728: D0C90026 00023114
	v_add_u32_e32 v20, 16, v20                                 // 000000009730: 68282890
	s_nop 0                                                    // 000000009734: BF800000
	v_cndmask_b32_e64 v52, v25, v52, s[38:39]                  // 000000009738: D1000034 009A6919
	v_cmp_lt_u32_e64 s[38:39], v21, v24                        // 000000009740: D0C90026 00023115
	v_add_u32_e32 v21, 16, v21                                 // 000000009748: 682A2A90
	s_nop 0                                                    // 00000000974C: BF800000
	v_cndmask_b32_e64 v53, v25, v53, s[38:39]                  // 000000009750: D1000035 009A6B19
	v_cmp_lt_u32_e64 s[38:39], v22, v24                        // 000000009758: D0C90026 00023116
	v_add_u32_e32 v22, 16, v22                                 // 000000009760: 682C2C90
	s_nop 0                                                    // 000000009764: BF800000
	v_cndmask_b32_e64 v54, v25, v54, s[38:39]                  // 000000009768: D1000036 009A6D19
	v_cmp_lt_u32_e64 s[38:39], v23, v24                        // 000000009770: D0C90026 00023117
	v_add_u32_e32 v23, 16, v23                                 // 000000009778: 682E2E90
	s_nop 0                                                    // 00000000977C: BF800000
	v_cndmask_b32_e64 v55, v25, v55, s[38:39]                  // 000000009780: D1000037 009A6F19
	v_mfma_f32_16x16x32_fp8_fp8 v[56:59], a[72:73], v[40:41], v[56:59]// 000000009788: D3F30038 0CE25148
	ds_read_b128 a[104:107], v7 offset:45312                   // 000000009790: DBFEB100 68000007
	ds_read_b128 a[108:111], v7 offset:46336                   // 000000009798: DBFEB500 6C000007
	v_mfma_f32_16x16x32_fp8_fp8 v[60:63], a[74:75], v[40:41], v[60:63]// 0000000097A0: D3F3003C 0CF2514A
	v_mfma_f32_16x16x32_fp8_fp8 v[64:67], a[76:77], v[40:41], v[64:67]// 0000000097A8: D3F30040 0D02514C
	v_mfma_f32_16x16x32_fp8_fp8 v[68:71], a[78:79], v[40:41], v[68:71]// 0000000097B0: D3F30044 0D12514E
	v_mfma_f32_16x16x32_fp8_fp8 v[72:75], a[80:81], v[40:41], v[72:75]// 0000000097B8: D3F30048 0D225150
	ds_read_b128 a[112:115], v7 offset:47360                   // 0000000097C0: DBFEB900 70000007
	ds_read_b128 a[116:119], v7 offset:48384                   // 0000000097C8: DBFEBD00 74000007
	v_mfma_f32_16x16x32_fp8_fp8 v[76:79], a[82:83], v[40:41], v[76:79]// 0000000097D0: D3F3004C 0D325152
	v_mfma_f32_16x16x32_fp8_fp8 v[80:83], a[84:85], v[40:41], v[80:83]// 0000000097D8: D3F30050 0D425154
	v_mfma_f32_16x16x32_fp8_fp8 v[84:87], a[86:87], v[40:41], v[84:87]// 0000000097E0: D3F30054 0D525156
	v_mfma_f32_16x16x32_fp8_fp8 v[88:91], a[88:89], v[40:41], v[88:91]// 0000000097E8: D3F30058 0D625158
	ds_read_b128 a[120:123], v7 offset:49408                   // 0000000097F0: DBFEC100 78000007
	ds_read_b128 a[124:127], v7 offset:50432                   // 0000000097F8: DBFEC500 7C000007
	v_mfma_f32_16x16x32_fp8_fp8 v[92:95], a[90:91], v[40:41], v[92:95]// 000000009800: D3F3005C 0D72515A
	v_mfma_f32_16x16x32_fp8_fp8 v[96:99], a[92:93], v[40:41], v[96:99]// 000000009808: D3F30060 0D82515C
	v_mfma_f32_16x16x32_fp8_fp8 v[100:103], a[94:95], v[40:41], v[100:103]// 000000009810: D3F30064 0D92515E
	v_mfma_f32_16x16x32_fp8_fp8 v[104:107], a[96:97], v[40:41], v[104:107]// 000000009818: D3F30068 0DA25160
	ds_read_b128 a[128:131], v7 offset:51456                   // 000000009820: DBFEC900 80000007
	ds_read_b128 a[132:135], v7 offset:52480                   // 000000009828: DBFECD00 84000007
	v_mfma_f32_16x16x32_fp8_fp8 v[108:111], a[98:99], v[40:41], v[108:111]// 000000009830: D3F3006C 0DB25162
	v_mfma_f32_16x16x32_fp8_fp8 v[112:115], a[100:101], v[40:41], v[112:115]// 000000009838: D3F30070 0DC25164
	v_mfma_f32_16x16x32_fp8_fp8 v[116:119], a[102:103], v[40:41], v[116:119]// 000000009840: D3F30074 0DD25166
	s_waitcnt lgkmcnt(4)                                       // 000000009848: BF8CC47F
	v_mfma_f32_16x16x32_fp8_fp8 v[120:123], a[104:105], v[40:41], v[120:123]// 00000000984C: D3F30078 0DE25168
	v_max3_f32 v24, v48, v49, v48                              // 000000009854: D1D30018 04C26330
	v_max3_f32 v24, v50, v51, v24                              // 00000000985C: D1D30018 04626732
	v_max3_f32 v24, v52, v53, v24                              // 000000009864: D1D30018 04626B34
	v_max3_f32 v24, v54, v55, v24                              // 00000000986C: D1D30018 04626F36
	ds_write_b32 v3, v24 offset:54528                          // 000000009874: D81AD500 00001803
	v_mfma_f32_16x16x32_fp8_fp8 v[124:127], a[106:107], v[40:41], v[124:127]// 00000000987C: D3F3007C 0DF2516A
	v_mfma_f32_16x16x32_fp8_fp8 v[128:131], a[108:109], v[40:41], v[128:131]// 000000009884: D3F30080 0E02516C
	v_mfma_f32_16x16x32_fp8_fp8 v[132:135], a[110:111], v[40:41], v[132:135]// 00000000988C: D3F30084 0E12516E
	v_mfma_f32_16x16x32_fp8_fp8 v[136:139], a[112:113], v[40:41], v[136:139]// 000000009894: D3F30088 0E225170
	v_mfma_f32_16x16x32_fp8_fp8 v[140:143], a[114:115], v[40:41], v[140:143]// 00000000989C: D3F3008C 0E325172
	v_mfma_f32_16x16x32_fp8_fp8 v[144:147], a[116:117], v[40:41], v[144:147]// 0000000098A4: D3F30090 0E425174
	v_mfma_f32_16x16x32_fp8_fp8 v[148:151], a[118:119], v[40:41], v[148:151]// 0000000098AC: D3F30094 0E525176
	s_waitcnt lgkmcnt(0)                                       // 0000000098B4: BF8CC07F
	v_mfma_f32_16x16x32_fp8_fp8 v[152:155], a[120:121], v[40:41], v[152:155]// 0000000098B8: D3F30098 0E625178
	s_waitcnt lgkmcnt(0)                                       // 0000000098C0: BF8CC07F
	ds_read_b32 v20, v2 offset:54528                           // 0000000098C4: D86CD500 14000002
	ds_read_b32 v21, v2 offset:54592                           // 0000000098CC: D86CD540 15000002
	v_mfma_f32_16x16x32_fp8_fp8 a[144:147], a[122:123], v[40:41], a[144:147]// 0000000098D4: D3F38090 0E42517A
	ds_read_b32 v22, v2 offset:54656                           // 0000000098DC: D86CD580 16000002
	ds_read_b32 v23, v2 offset:54720                           // 0000000098E4: D86CD5C0 17000002
	v_mfma_f32_16x16x32_fp8_fp8 a[148:151], a[124:125], v[40:41], a[148:151]// 0000000098EC: D3F38094 0E52517C
	v_mfma_f32_16x16x32_fp8_fp8 a[152:155], a[126:127], v[40:41], a[152:155]// 0000000098F4: D3F38098 0E62517E
	v_mfma_f32_16x16x32_fp8_fp8 a[156:159], a[128:129], v[40:41], a[156:159]// 0000000098FC: D3F3809C 0E725180
	v_mfma_f32_16x16x32_fp8_fp8 a[160:163], a[130:131], v[40:41], a[160:163]// 000000009904: D3F380A0 0E825182
	v_mfma_f32_16x16x32_fp8_fp8 a[164:167], a[132:133], v[40:41], a[164:167]// 00000000990C: D3F380A4 0E925184
	v_mfma_f32_16x16x32_fp8_fp8 a[168:171], a[134:135], v[40:41], a[168:171]// 000000009914: D3F380A8 0EA25186
	s_waitcnt lgkmcnt(0)                                       // 00000000991C: BF8CC07F
	v_max3_f32 v24, v20, v21, v24                              // 000000009920: D1D30018 04622B14
	v_max3_f32 v24, v22, v23, v24                              // 000000009928: D1D30018 04622F16
	v_mov_b32_e32 v25, 0xff7fffff                              // 000000009930: 7E3202FF FF7FFFFF
	v_cmp_eq_u32_e64 s[38:39], v25, v13                        // 000000009938: D0CA0026 00021B19
	v_max_f32_e32 v20, v24, v13                                // 000000009940: 16281B18
	v_sub_f32_e32 v17, v13, v20                                // 000000009944: 0422290D
	v_cndmask_b32_e64 v17, v17, 0, s[38:39]                    // 000000009948: D1000011 00990111
	v_mov_b32_e32 v13, v20                                     // 000000009950: 7E1A0314
	v_mul_f32_e32 v21, s5, v20                                 // 000000009954: 0A2A2805
	v_mul_f32_e32 v17, s5, v17                                 // 000000009958: 0A222205
	v_exp_f32_e32 v17, v17                                     // 00000000995C: 7E224111
	v_fma_f32 v48, v48, s5, -v21                               // 000000009960: D1CB0030 84540B30
	v_fma_f32 v49, v49, s5, -v21                               // 000000009968: D1CB0031 84540B31
	v_fma_f32 v50, v50, s5, -v21                               // 000000009970: D1CB0032 84540B32
	v_fma_f32 v51, v51, s5, -v21                               // 000000009978: D1CB0033 84540B33
	v_fma_f32 v52, v52, s5, -v21                               // 000000009980: D1CB0034 84540B34
	v_fma_f32 v53, v53, s5, -v21                               // 000000009988: D1CB0035 84540B35
	v_fma_f32 v54, v54, s5, -v21                               // 000000009990: D1CB0036 84540B36
	v_fma_f32 v55, v55, s5, -v21                               // 000000009998: D1CB0037 84540B37
	v_exp_f32_e32 v48, v48                                     // 0000000099A0: 7E604130
	v_exp_f32_e32 v49, v49                                     // 0000000099A4: 7E624131
	v_exp_f32_e32 v50, v50                                     // 0000000099A8: 7E644132
	v_exp_f32_e32 v51, v51                                     // 0000000099AC: 7E664133
	v_exp_f32_e32 v52, v52                                     // 0000000099B0: 7E684134
	v_exp_f32_e32 v53, v53                                     // 0000000099B4: 7E6A4135
	v_exp_f32_e32 v54, v54                                     // 0000000099B8: 7E6C4136
	v_exp_f32_e32 v55, v55                                     // 0000000099BC: 7E6E4137
	v_mul_f32_e32 v15, v17, v15                                // 0000000099C0: 0A1E1F11
	v_mov_b32_e32 v22, v48                                     // 0000000099C4: 7E2C0330
	v_add_f32_e32 v22, v49, v22                                // 0000000099C8: 022C2D31
	v_add_f32_e32 v22, v50, v22                                // 0000000099CC: 022C2D32
	v_add_f32_e32 v22, v51, v22                                // 0000000099D0: 022C2D33
	v_add_f32_e32 v22, v52, v22                                // 0000000099D4: 022C2D34
	v_add_f32_e32 v22, v53, v22                                // 0000000099D8: 022C2D35
	v_add_f32_e32 v22, v54, v22                                // 0000000099DC: 022C2D36
	v_add_f32_e32 v22, v55, v22                                // 0000000099E0: 022C2D37
	v_add_f32_e32 v15, v22, v15                                // 0000000099E4: 021E1F16
	v_cvt_pk_fp8_f32 v42, v48, v49                             // 0000000099E8: D2A2002A 00026330
	v_cvt_pk_fp8_f32 v42, v50, v51 op_sel:[0,0,1]              // 0000000099F0: D2A2402A 00026732
	v_cvt_pk_fp8_f32 v43, v52, v53                             // 0000000099F8: D2A2002B 00026B34
	v_cvt_pk_fp8_f32 v43, v54, v55 op_sel:[0,0,1]              // 000000009A00: D2A2402B 00026F36
	s_nop 0                                                    // 000000009A08: BF800000
	v_mov_b32_e32 v22, v17                                     // 000000009A0C: 7E2C0311
	v_mov_b32_e32 v23, v17                                     // 000000009A10: 7E2E0311
	v_pk_mul_f32 v[156:157], v[22:23], v[156:157]              // 000000009A14: D3B1409C 18033916
	v_pk_mul_f32 v[158:159], v[22:23], v[158:159]              // 000000009A1C: D3B1409E 18033D16
	v_pk_mul_f32 v[160:161], v[22:23], v[160:161]              // 000000009A24: D3B140A0 18034116
	v_pk_mul_f32 v[162:163], v[22:23], v[162:163]              // 000000009A2C: D3B140A2 18034516
	v_pk_mul_f32 v[164:165], v[22:23], v[164:165]              // 000000009A34: D3B140A4 18034916
	v_pk_mul_f32 v[166:167], v[22:23], v[166:167]              // 000000009A3C: D3B140A6 18034D16
	v_pk_mul_f32 v[168:169], v[22:23], v[168:169]              // 000000009A44: D3B140A8 18035116
	v_pk_mul_f32 v[170:171], v[22:23], v[170:171]              // 000000009A4C: D3B140AA 18035516
	v_pk_mul_f32 v[172:173], v[22:23], v[172:173]              // 000000009A54: D3B140AC 18035916
	v_pk_mul_f32 v[174:175], v[22:23], v[174:175]              // 000000009A5C: D3B140AE 18035D16
	v_pk_mul_f32 v[176:177], v[22:23], v[176:177]              // 000000009A64: D3B140B0 18036116
	v_pk_mul_f32 v[178:179], v[22:23], v[178:179]              // 000000009A6C: D3B140B2 18036516
	v_pk_mul_f32 v[180:181], v[22:23], v[180:181]              // 000000009A74: D3B140B4 18036916
	v_pk_mul_f32 v[182:183], v[22:23], v[182:183]              // 000000009A7C: D3B140B6 18036D16
	v_pk_mul_f32 v[184:185], v[22:23], v[184:185]              // 000000009A84: D3B140B8 18037116
	v_pk_mul_f32 v[186:187], v[22:23], v[186:187]              // 000000009A8C: D3B140BA 18037516
	v_pk_mul_f32 v[188:189], v[22:23], v[188:189]              // 000000009A94: D3B140BC 18037916
	v_pk_mul_f32 v[190:191], v[22:23], v[190:191]              // 000000009A9C: D3B140BE 18037D16
	v_pk_mul_f32 v[192:193], v[22:23], v[192:193]              // 000000009AA4: D3B140C0 18038116
	v_pk_mul_f32 v[194:195], v[22:23], v[194:195]              // 000000009AAC: D3B140C2 18038516
	v_pk_mul_f32 v[196:197], v[22:23], v[196:197]              // 000000009AB4: D3B140C4 18038916
	v_pk_mul_f32 v[198:199], v[22:23], v[198:199]              // 000000009ABC: D3B140C6 18038D16
	v_pk_mul_f32 v[200:201], v[22:23], v[200:201]              // 000000009AC4: D3B140C8 18039116
	v_pk_mul_f32 v[202:203], v[22:23], v[202:203]              // 000000009ACC: D3B140CA 18039516
	v_pk_mul_f32 v[204:205], v[22:23], v[204:205]              // 000000009AD4: D3B140CC 18039916
	v_pk_mul_f32 v[206:207], v[22:23], v[206:207]              // 000000009ADC: D3B140CE 18039D16
	v_pk_mul_f32 v[208:209], v[22:23], v[208:209]              // 000000009AE4: D3B140D0 1803A116
	v_pk_mul_f32 v[210:211], v[22:23], v[210:211]              // 000000009AEC: D3B140D2 1803A516
	v_pk_mul_f32 v[212:213], v[22:23], v[212:213]              // 000000009AF4: D3B140D4 1803A916
	v_pk_mul_f32 v[214:215], v[22:23], v[214:215]              // 000000009AFC: D3B140D6 1803AD16
	v_pk_mul_f32 v[216:217], v[22:23], v[216:217]              // 000000009B04: D3B140D8 1803B116
	v_pk_mul_f32 v[218:219], v[22:23], v[218:219]              // 000000009B0C: D3B140DA 1803B516
	v_pk_mul_f32 v[220:221], v[22:23], v[220:221]              // 000000009B14: D3B140DC 1803B916
	v_pk_mul_f32 v[222:223], v[22:23], v[222:223]              // 000000009B1C: D3B140DE 1803BD16
	v_pk_mul_f32 v[224:225], v[22:23], v[224:225]              // 000000009B24: D3B140E0 1803C116
	v_pk_mul_f32 v[226:227], v[22:23], v[226:227]              // 000000009B2C: D3B140E2 1803C516
	v_pk_mul_f32 v[228:229], v[22:23], v[228:229]              // 000000009B34: D3B140E4 1803C916
	v_pk_mul_f32 v[230:231], v[22:23], v[230:231]              // 000000009B3C: D3B140E6 1803CD16
	v_pk_mul_f32 v[232:233], v[22:23], v[232:233]              // 000000009B44: D3B140E8 1803D116
	v_pk_mul_f32 v[234:235], v[22:23], v[234:235]              // 000000009B4C: D3B140EA 1803D516
	v_pk_mul_f32 v[236:237], v[22:23], v[236:237]              // 000000009B54: D3B140EC 1803D916
	v_pk_mul_f32 v[238:239], v[22:23], v[238:239]              // 000000009B5C: D3B140EE 1803DD16
	v_pk_mul_f32 v[240:241], v[22:23], v[240:241]              // 000000009B64: D3B140F0 1803E116
	v_pk_mul_f32 v[242:243], v[22:23], v[242:243]              // 000000009B6C: D3B140F2 1803E516
	v_pk_mul_f32 v[244:245], v[22:23], v[244:245]              // 000000009B74: D3B140F4 1803E916
	v_pk_mul_f32 v[246:247], v[22:23], v[246:247]              // 000000009B7C: D3B140F6 1803ED16
	v_pk_mul_f32 v[248:249], v[22:23], v[248:249]              // 000000009B84: D3B140F8 1803F116
	v_pk_mul_f32 v[250:251], v[22:23], v[250:251]              // 000000009B8C: D3B140FA 1803F516
	v_pk_mul_f32 v[252:253], v[22:23], v[252:253]              // 000000009B94: D3B140FC 1803F916
	v_pk_mul_f32 v[254:255], v[22:23], v[254:255]              // 000000009B9C: D3B140FE 1803FD16
	v_accvgpr_read_b32 v20, a172                               // 000000009BA4: D3D84014 180001AC
	v_accvgpr_read_b32 v21, a173                               // 000000009BAC: D3D84015 180001AD
	v_pk_mul_f32 v[20:21], v[22:23], v[20:21]                  // 000000009BB4: D3B14014 18022916
	v_accvgpr_write_b32 a172, v20                              // 000000009BBC: D3D940AC 18000114
	v_accvgpr_write_b32 a173, v21                              // 000000009BC4: D3D940AD 18000115
	v_accvgpr_read_b32 v20, a174                               // 000000009BCC: D3D84014 180001AE
	v_accvgpr_read_b32 v21, a175                               // 000000009BD4: D3D84015 180001AF
	v_pk_mul_f32 v[20:21], v[22:23], v[20:21]                  // 000000009BDC: D3B14014 18022916
	v_accvgpr_write_b32 a174, v20                              // 000000009BE4: D3D940AE 18000114
	v_accvgpr_write_b32 a175, v21                              // 000000009BEC: D3D940AF 18000115
	v_accvgpr_read_b32 v20, a176                               // 000000009BF4: D3D84014 180001B0
	v_accvgpr_read_b32 v21, a177                               // 000000009BFC: D3D84015 180001B1
	v_pk_mul_f32 v[20:21], v[22:23], v[20:21]                  // 000000009C04: D3B14014 18022916
	v_accvgpr_write_b32 a176, v20                              // 000000009C0C: D3D940B0 18000114
	v_accvgpr_write_b32 a177, v21                              // 000000009C14: D3D940B1 18000115
	v_accvgpr_read_b32 v20, a178                               // 000000009C1C: D3D84014 180001B2
	v_accvgpr_read_b32 v21, a179                               // 000000009C24: D3D84015 180001B3
	v_pk_mul_f32 v[20:21], v[22:23], v[20:21]                  // 000000009C2C: D3B14014 18022916
	v_accvgpr_write_b32 a178, v20                              // 000000009C34: D3D940B2 18000114
	v_accvgpr_write_b32 a179, v21                              // 000000009C3C: D3D940B3 18000115
	v_accvgpr_read_b32 v20, a180                               // 000000009C44: D3D84014 180001B4
	v_accvgpr_read_b32 v21, a181                               // 000000009C4C: D3D84015 180001B5
	v_pk_mul_f32 v[20:21], v[22:23], v[20:21]                  // 000000009C54: D3B14014 18022916
	v_accvgpr_write_b32 a180, v20                              // 000000009C5C: D3D940B4 18000114
	v_accvgpr_write_b32 a181, v21                              // 000000009C64: D3D940B5 18000115
	v_accvgpr_read_b32 v20, a182                               // 000000009C6C: D3D84014 180001B6
	v_accvgpr_read_b32 v21, a183                               // 000000009C74: D3D84015 180001B7
	v_pk_mul_f32 v[20:21], v[22:23], v[20:21]                  // 000000009C7C: D3B14014 18022916
	v_accvgpr_write_b32 a182, v20                              // 000000009C84: D3D940B6 18000114
	v_accvgpr_write_b32 a183, v21                              // 000000009C8C: D3D940B7 18000115
	v_accvgpr_read_b32 v20, a184                               // 000000009C94: D3D84014 180001B8
	v_accvgpr_read_b32 v21, a185                               // 000000009C9C: D3D84015 180001B9
	v_pk_mul_f32 v[20:21], v[22:23], v[20:21]                  // 000000009CA4: D3B14014 18022916
	v_accvgpr_write_b32 a184, v20                              // 000000009CAC: D3D940B8 18000114
	v_accvgpr_write_b32 a185, v21                              // 000000009CB4: D3D940B9 18000115
	v_accvgpr_read_b32 v20, a186                               // 000000009CBC: D3D84014 180001BA
	v_accvgpr_read_b32 v21, a187                               // 000000009CC4: D3D84015 180001BB
	v_pk_mul_f32 v[20:21], v[22:23], v[20:21]                  // 000000009CCC: D3B14014 18022916
	v_accvgpr_write_b32 a186, v20                              // 000000009CD4: D3D940BA 18000114
	v_accvgpr_write_b32 a187, v21                              // 000000009CDC: D3D940BB 18000115
	v_accvgpr_read_b32 v20, a188                               // 000000009CE4: D3D84014 180001BC
	v_accvgpr_read_b32 v21, a189                               // 000000009CEC: D3D84015 180001BD
	v_pk_mul_f32 v[20:21], v[22:23], v[20:21]                  // 000000009CF4: D3B14014 18022916
	v_accvgpr_write_b32 a188, v20                              // 000000009CFC: D3D940BC 18000114
	v_accvgpr_write_b32 a189, v21                              // 000000009D04: D3D940BD 18000115
	v_accvgpr_read_b32 v20, a190                               // 000000009D0C: D3D84014 180001BE
	v_accvgpr_read_b32 v21, a191                               // 000000009D14: D3D84015 180001BF
	v_pk_mul_f32 v[20:21], v[22:23], v[20:21]                  // 000000009D1C: D3B14014 18022916
	v_accvgpr_write_b32 a190, v20                              // 000000009D24: D3D940BE 18000114
	v_accvgpr_write_b32 a191, v21                              // 000000009D2C: D3D940BF 18000115
	v_accvgpr_read_b32 v20, a192                               // 000000009D34: D3D84014 180001C0
	v_accvgpr_read_b32 v21, a193                               // 000000009D3C: D3D84015 180001C1
	v_pk_mul_f32 v[20:21], v[22:23], v[20:21]                  // 000000009D44: D3B14014 18022916
	v_accvgpr_write_b32 a192, v20                              // 000000009D4C: D3D940C0 18000114
	v_accvgpr_write_b32 a193, v21                              // 000000009D54: D3D940C1 18000115
	v_accvgpr_read_b32 v20, a194                               // 000000009D5C: D3D84014 180001C2
	v_accvgpr_read_b32 v21, a195                               // 000000009D64: D3D84015 180001C3
	v_pk_mul_f32 v[20:21], v[22:23], v[20:21]                  // 000000009D6C: D3B14014 18022916
	v_accvgpr_write_b32 a194, v20                              // 000000009D74: D3D940C2 18000114
	v_accvgpr_write_b32 a195, v21                              // 000000009D7C: D3D940C3 18000115
	v_accvgpr_read_b32 v20, a196                               // 000000009D84: D3D84014 180001C4
	v_accvgpr_read_b32 v21, a197                               // 000000009D8C: D3D84015 180001C5
	v_pk_mul_f32 v[20:21], v[22:23], v[20:21]                  // 000000009D94: D3B14014 18022916
	v_accvgpr_write_b32 a196, v20                              // 000000009D9C: D3D940C4 18000114
	v_accvgpr_write_b32 a197, v21                              // 000000009DA4: D3D940C5 18000115
	v_accvgpr_read_b32 v20, a198                               // 000000009DAC: D3D84014 180001C6
	v_accvgpr_read_b32 v21, a199                               // 000000009DB4: D3D84015 180001C7
	v_pk_mul_f32 v[20:21], v[22:23], v[20:21]                  // 000000009DBC: D3B14014 18022916
	v_accvgpr_write_b32 a198, v20                              // 000000009DC4: D3D940C6 18000114
	v_accvgpr_write_b32 a199, v21                              // 000000009DCC: D3D940C7 18000115
	s_waitcnt vmcnt(18) lgkmcnt(0)                             // 000000009DD4: BF8C4072
	s_barrier                                                  // 000000009DD8: BF8A0000
	v_mfma_f32_16x16x32_fp8_fp8 v[156:159], a[72:73], v[42:43], v[156:159]// 000000009DDC: D3F3009C 0E725548
	v_mfma_f32_16x16x32_fp8_fp8 v[160:163], a[74:75], v[42:43], v[160:163]// 000000009DE4: D3F300A0 0E82554A
	v_mfma_f32_16x16x32_fp8_fp8 v[164:167], a[76:77], v[42:43], v[164:167]// 000000009DEC: D3F300A4 0E92554C
	v_mfma_f32_16x16x32_fp8_fp8 v[168:171], a[78:79], v[42:43], v[168:171]// 000000009DF4: D3F300A8 0EA2554E
	v_mfma_f32_16x16x32_fp8_fp8 v[172:175], a[80:81], v[42:43], v[172:175]// 000000009DFC: D3F300AC 0EB25550
	v_mfma_f32_16x16x32_fp8_fp8 v[176:179], a[82:83], v[42:43], v[176:179]// 000000009E04: D3F300B0 0EC25552
	v_mfma_f32_16x16x32_fp8_fp8 v[180:183], a[84:85], v[42:43], v[180:183]// 000000009E0C: D3F300B4 0ED25554
	v_mfma_f32_16x16x32_fp8_fp8 v[184:187], a[86:87], v[42:43], v[184:187]// 000000009E14: D3F300B8 0EE25556
	v_mfma_f32_16x16x32_fp8_fp8 v[188:191], a[88:89], v[42:43], v[188:191]// 000000009E1C: D3F300BC 0EF25558
	v_mfma_f32_16x16x32_fp8_fp8 v[192:195], a[90:91], v[42:43], v[192:195]// 000000009E24: D3F300C0 0F02555A
	v_mfma_f32_16x16x32_fp8_fp8 v[196:199], a[92:93], v[42:43], v[196:199]// 000000009E2C: D3F300C4 0F12555C
	v_mfma_f32_16x16x32_fp8_fp8 v[200:203], a[94:95], v[42:43], v[200:203]// 000000009E34: D3F300C8 0F22555E
	v_mfma_f32_16x16x32_fp8_fp8 v[204:207], a[96:97], v[42:43], v[204:207]// 000000009E3C: D3F300CC 0F325560
	v_mfma_f32_16x16x32_fp8_fp8 v[208:211], a[98:99], v[42:43], v[208:211]// 000000009E44: D3F300D0 0F425562
	v_mfma_f32_16x16x32_fp8_fp8 v[212:215], a[100:101], v[42:43], v[212:215]// 000000009E4C: D3F300D4 0F525564
	v_mfma_f32_16x16x32_fp8_fp8 v[216:219], a[102:103], v[42:43], v[216:219]// 000000009E54: D3F300D8 0F625566
	v_mfma_f32_16x16x32_fp8_fp8 v[220:223], a[104:105], v[42:43], v[220:223]// 000000009E5C: D3F300DC 0F725568
	v_mfma_f32_16x16x32_fp8_fp8 v[224:227], a[106:107], v[42:43], v[224:227]// 000000009E64: D3F300E0 0F82556A
	v_mfma_f32_16x16x32_fp8_fp8 v[228:231], a[108:109], v[42:43], v[228:231]// 000000009E6C: D3F300E4 0F92556C
	v_mfma_f32_16x16x32_fp8_fp8 v[232:235], a[110:111], v[42:43], v[232:235]// 000000009E74: D3F300E8 0FA2556E
	v_mfma_f32_16x16x32_fp8_fp8 v[236:239], a[112:113], v[42:43], v[236:239]// 000000009E7C: D3F300EC 0FB25570
	v_mfma_f32_16x16x32_fp8_fp8 v[240:243], a[114:115], v[42:43], v[240:243]// 000000009E84: D3F300F0 0FC25572
	v_mfma_f32_16x16x32_fp8_fp8 v[244:247], a[116:117], v[42:43], v[244:247]// 000000009E8C: D3F300F4 0FD25574
	v_mfma_f32_16x16x32_fp8_fp8 v[248:251], a[118:119], v[42:43], v[248:251]// 000000009E94: D3F300F8 0FE25576
	v_mfma_f32_16x16x32_fp8_fp8 v[252:255], a[120:121], v[42:43], v[252:255]// 000000009E9C: D3F300FC 0FF25578
	v_mfma_f32_16x16x32_fp8_fp8 a[172:175], a[122:123], v[42:43], a[172:175]// 000000009EA4: D3F380AC 0EB2557A
	v_mfma_f32_16x16x32_fp8_fp8 a[176:179], a[124:125], v[42:43], a[176:179]// 000000009EAC: D3F380B0 0EC2557C
	v_mfma_f32_16x16x32_fp8_fp8 a[180:183], a[126:127], v[42:43], a[180:183]// 000000009EB4: D3F380B4 0ED2557E
	v_mfma_f32_16x16x32_fp8_fp8 a[184:187], a[128:129], v[42:43], a[184:187]// 000000009EBC: D3F380B8 0EE25580
	v_mfma_f32_16x16x32_fp8_fp8 a[188:191], a[130:131], v[42:43], a[188:191]// 000000009EC4: D3F380BC 0EF25582
	v_mfma_f32_16x16x32_fp8_fp8 a[192:195], a[132:133], v[42:43], a[192:195]// 000000009ECC: D3F380C0 0F025584
	v_mfma_f32_16x16x32_fp8_fp8 a[196:199], a[134:135], v[42:43], a[196:199]// 000000009ED4: D3F380C4 0F125586
	s_nop 8                                                    // 000000009EDC: BF800008
	s_branch label_23DF                                        // 000000009EE0: BF8204E6

0000000000009ee4 <label_1EF9>:
	s_waitcnt lgkmcnt(4)                                       // 000000009EE4: BF8CC47F
	v_mfma_f32_16x16x32_fp8_fp8 v[40:43], a[72:73], a[0:1], 0  // 000000009EE8: D3F30028 1A020148
	ds_read_b128 a[104:107], v4 offset:20608                   // 000000009EF0: DBFE5080 68000004
	ds_read_b128 a[108:111], v4 offset:18688                   // 000000009EF8: DBFE4900 6C000004
	v_mfma_f32_16x16x32_fp8_fp8 v[40:43], a[74:75], a[2:3], v[40:43]// 000000009F00: D3F30028 1CA2054A
	v_mfma_f32_16x16x32_fp8_fp8 v[40:43], a[76:77], a[4:5], v[40:43]// 000000009F08: D3F30028 1CA2094C
	v_mfma_f32_16x16x32_fp8_fp8 v[40:43], a[78:79], a[6:7], v[40:43]// 000000009F10: D3F30028 1CA20D4E
	v_mfma_f32_16x16x32_fp8_fp8 v[40:43], a[80:81], a[8:9], v[40:43]// 000000009F18: D3F30028 1CA21150
	ds_read_b128 a[112:115], v4 offset:18944                   // 000000009F20: DBFE4A00 70000004
	ds_read_b128 a[116:119], v4 offset:19200                   // 000000009F28: DBFE4B00 74000004
	v_mfma_f32_16x16x32_fp8_fp8 v[40:43], a[82:83], a[10:11], v[40:43]// 000000009F30: D3F30028 1CA21552
	v_mfma_f32_16x16x32_fp8_fp8 v[40:43], a[84:85], a[12:13], v[40:43]// 000000009F38: D3F30028 1CA21954
	v_mfma_f32_16x16x32_fp8_fp8 v[40:43], a[86:87], a[14:15], v[40:43]// 000000009F40: D3F30028 1CA21D56
	s_waitcnt lgkmcnt(4)                                       // 000000009F48: BF8CC47F
	v_mfma_f32_16x16x32_fp8_fp8 v[40:43], a[88:89], a[16:17], v[40:43]// 000000009F4C: D3F30028 1CA22158
	ds_read_b128 a[120:123], v4 offset:19456                   // 000000009F54: DBFE4C00 78000004
	ds_read_b128 a[124:127], v4 offset:19712                   // 000000009F5C: DBFE4D00 7C000004
	v_mfma_f32_16x16x32_fp8_fp8 v[40:43], a[90:91], a[18:19], v[40:43]// 000000009F64: D3F30028 1CA2255A
	v_mfma_f32_16x16x32_fp8_fp8 v[40:43], a[92:93], a[20:21], v[40:43]// 000000009F6C: D3F30028 1CA2295C
	v_mfma_f32_16x16x32_fp8_fp8 v[40:43], a[94:95], a[22:23], v[40:43]// 000000009F74: D3F30028 1CA22D5E
	v_mfma_f32_16x16x32_fp8_fp8 v[40:43], a[96:97], a[24:25], v[40:43]// 000000009F7C: D3F30028 1CA23160
	ds_read_b128 a[128:131], v4 offset:19968                   // 000000009F84: DBFE4E00 80000004
	ds_read_b128 a[132:135], v4 offset:20224                   // 000000009F8C: DBFE4F00 84000004
	v_mfma_f32_16x16x32_fp8_fp8 v[40:43], a[98:99], a[26:27], v[40:43]// 000000009F94: D3F30028 1CA23562
	v_mfma_f32_16x16x32_fp8_fp8 v[40:43], a[100:101], a[28:29], v[40:43]// 000000009F9C: D3F30028 1CA23964
	v_mfma_f32_16x16x32_fp8_fp8 v[40:43], a[102:103], a[30:31], v[40:43]// 000000009FA4: D3F30028 1CA23D66
	s_waitcnt lgkmcnt(4)                                       // 000000009FAC: BF8CC47F
	s_barrier                                                  // 000000009FB0: BF8A0000
	v_mfma_f32_16x16x32_fp8_fp8 v[40:43], a[104:105], a[32:33], v[40:43]// 000000009FB4: D3F30028 1CA24168
	ds_read_b128 a[136:139], v4 offset:20480                   // 000000009FBC: DBFE5000 88000004
	ds_read_b128 a[140:143], v4 offset:20736                   // 000000009FC4: DBFE5100 8C000004
	v_mfma_f32_16x16x32_fp8_fp8 v[40:43], a[106:107], a[34:35], v[40:43]// 000000009FCC: D3F30028 1CA2456A
	v_mfma_f32_16x16x32_fp8_fp8 v[44:47], a[108:109], a[0:1], 0// 000000009FD4: D3F3002C 1A02016C
	v_perm_b32 v32, v22, v20, s52                              // 000000009FDC: D1ED0020 00D22916
	v_perm_b32 v33, v22, v20, s53                              // 000000009FE4: D1ED0021 00D62916
	v_perm_b32 v34, v23, v21, s52                              // 000000009FEC: D1ED0022 00D22B17
	v_perm_b32 v35, v23, v21, s53                              // 000000009FF4: D1ED0023 00D62B17
	v_perm_b32 v28, v34, v32, s54                              // 000000009FFC: D1ED001C 00DA4122
	v_perm_b32 v36, v34, v32, s55                              // 00000000A004: D1ED0024 00DE4122
	v_perm_b32 v30, v35, v33, s54                              // 00000000A00C: D1ED001E 00DA4323
	v_perm_b32 v38, v35, v33, s55                              // 00000000A014: D1ED0026 00DE4323
	v_mfma_f32_16x16x32_fp8_fp8 v[44:47], a[110:111], a[2:3], v[44:47]// 00000000A01C: D3F3002C 1CB2056E
	v_mfma_f32_16x16x32_fp8_fp8 v[44:47], a[112:113], a[4:5], v[44:47]// 00000000A024: D3F3002C 1CB20970
	v_perm_b32 v32, v26, v24, s52                              // 00000000A02C: D1ED0020 00D2311A
	v_perm_b32 v33, v26, v24, s53                              // 00000000A034: D1ED0021 00D6311A
	v_perm_b32 v34, v27, v25, s52                              // 00000000A03C: D1ED0022 00D2331B
	v_perm_b32 v35, v27, v25, s53                              // 00000000A044: D1ED0023 00D6331B
	v_perm_b32 v29, v34, v32, s54                              // 00000000A04C: D1ED001D 00DA4122
	v_perm_b32 v37, v34, v32, s55                              // 00000000A054: D1ED0025 00DE4122
	v_perm_b32 v31, v35, v33, s54                              // 00000000A05C: D1ED001F 00DA4323
	v_perm_b32 v39, v35, v33, s55                              // 00000000A064: D1ED0027 00DE4323
	v_mfma_f32_16x16x32_fp8_fp8 v[44:47], a[114:115], a[6:7], v[44:47]// 00000000A06C: D3F3002C 1CB20D72
	v_mfma_f32_16x16x32_fp8_fp8 v[44:47], a[116:117], a[8:9], v[44:47]// 00000000A074: D3F3002C 1CB21174
	ds_write_b128 v6, v[28:31] offset:45312                    // 00000000A07C: D9BEB100 00001C06
	v_mfma_f32_16x16x32_fp8_fp8 v[44:47], a[118:119], a[10:11], v[44:47]// 00000000A084: D3F3002C 1CB21576
	s_waitcnt lgkmcnt(1)                                       // 00000000A08C: BF8CC17F
	v_mfma_f32_16x16x32_fp8_fp8 v[44:47], a[120:121], a[12:13], v[44:47]// 00000000A090: D3F3002C 1CB21978
	ds_write_b128 v6, v[36:39] offset:46336                    // 00000000A098: D9BEB500 00002406
	v_mfma_f32_16x16x32_fp8_fp8 v[44:47], a[122:123], a[14:15], v[44:47]// 00000000A0A0: D3F3002C 1CB21D7A
	v_mfma_f32_16x16x32_fp8_fp8 v[44:47], a[124:125], a[16:17], v[44:47]// 00000000A0A8: D3F3002C 1CB2217C
	v_mfma_f32_16x16x32_fp8_fp8 v[44:47], a[126:127], a[18:19], v[44:47]// 00000000A0B0: D3F3002C 1CB2257E
	v_mfma_f32_16x16x32_fp8_fp8 v[44:47], a[128:129], a[20:21], v[44:47]// 00000000A0B8: D3F3002C 1CB22980
	v_mfma_f32_16x16x32_fp8_fp8 v[44:47], a[130:131], a[22:23], v[44:47]// 00000000A0C0: D3F3002C 1CB22D82
	v_mfma_f32_16x16x32_fp8_fp8 v[44:47], a[132:133], a[24:25], v[44:47]// 00000000A0C8: D3F3002C 1CB23184
	v_mfma_f32_16x16x32_fp8_fp8 v[44:47], a[134:135], a[26:27], v[44:47]// 00000000A0D0: D3F3002C 1CB23586
	v_mfma_f32_16x16x32_fp8_fp8 v[44:47], a[136:137], a[28:29], v[44:47]// 00000000A0D8: D3F3002C 1CB23988
	v_mfma_f32_16x16x32_fp8_fp8 v[44:47], a[138:139], a[30:31], v[44:47]// 00000000A0E0: D3F3002C 1CB23D8A
	v_mfma_f32_16x16x32_fp8_fp8 v[44:47], a[140:141], a[32:33], v[44:47]// 00000000A0E8: D3F3002C 1CB2418C
	v_mfma_f32_16x16x32_fp8_fp8 v[44:47], a[142:143], a[34:35], v[44:47]// 00000000A0F0: D3F3002C 1CB2458E
	s_cmp_le_i32 s83, s82                                      // 00000000A0F8: BF055253
	s_cbranch_scc1 label_1FBA                                  // 00000000A0FC: BF85003A
	v_mov_b32_e32 v25, 0xff800000                              // 00000000A100: 7E3202FF FF800000
	v_mov_b32_e32 v24, s82                                     // 00000000A108: 7E300252
	s_sub_u32 s56, s83, 31                                     // 00000000A10C: 80B89F53
	v_lshrrev_b32_e32 v20, 4, v0                               // 00000000A110: 20280084
	v_mul_i32_i24_e32 v20, 4, v20                              // 00000000A114: 0C282884
	v_add_u32_e32 v20, s56, v20                                // 00000000A118: 68282838
	v_add_u32_e32 v21, 1, v20                                  // 00000000A11C: 682A2881
	v_add_u32_e32 v22, 2, v20                                  // 00000000A120: 682C2882
	v_add_u32_e32 v23, 3, v20                                  // 00000000A124: 682E2883
	v_cmp_le_u32_e64 s[38:39], v20, v24                        // 00000000A128: D0CB0026 00023114
	v_add_u32_e32 v20, 16, v20                                 // 00000000A130: 68282890
	s_nop 0                                                    // 00000000A134: BF800000
	v_cndmask_b32_e64 v40, v25, v40, s[38:39]                  // 00000000A138: D1000028 009A5119
	v_cmp_le_u32_e64 s[38:39], v21, v24                        // 00000000A140: D0CB0026 00023115
	v_add_u32_e32 v21, 16, v21                                 // 00000000A148: 682A2A90
	s_nop 0                                                    // 00000000A14C: BF800000
	v_cndmask_b32_e64 v41, v25, v41, s[38:39]                  // 00000000A150: D1000029 009A5319
	v_cmp_le_u32_e64 s[38:39], v22, v24                        // 00000000A158: D0CB0026 00023116
	v_add_u32_e32 v22, 16, v22                                 // 00000000A160: 682C2C90
	s_nop 0                                                    // 00000000A164: BF800000
	v_cndmask_b32_e64 v42, v25, v42, s[38:39]                  // 00000000A168: D100002A 009A5519
	v_cmp_le_u32_e64 s[38:39], v23, v24                        // 00000000A170: D0CB0026 00023117
	v_add_u32_e32 v23, 16, v23                                 // 00000000A178: 682E2E90
	s_nop 0                                                    // 00000000A17C: BF800000
	v_cndmask_b32_e64 v43, v25, v43, s[38:39]                  // 00000000A180: D100002B 009A5719
	v_cmp_le_u32_e64 s[38:39], v20, v24                        // 00000000A188: D0CB0026 00023114
	v_add_u32_e32 v20, 16, v20                                 // 00000000A190: 68282890
	s_nop 0                                                    // 00000000A194: BF800000
	v_cndmask_b32_e64 v44, v25, v44, s[38:39]                  // 00000000A198: D100002C 009A5919
	v_cmp_le_u32_e64 s[38:39], v21, v24                        // 00000000A1A0: D0CB0026 00023115
	v_add_u32_e32 v21, 16, v21                                 // 00000000A1A8: 682A2A90
	s_nop 0                                                    // 00000000A1AC: BF800000
	v_cndmask_b32_e64 v45, v25, v45, s[38:39]                  // 00000000A1B0: D100002D 009A5B19
	v_cmp_le_u32_e64 s[38:39], v22, v24                        // 00000000A1B8: D0CB0026 00023116
	v_add_u32_e32 v22, 16, v22                                 // 00000000A1C0: 682C2C90
	s_nop 0                                                    // 00000000A1C4: BF800000
	v_cndmask_b32_e64 v46, v25, v46, s[38:39]                  // 00000000A1C8: D100002E 009A5D19
	v_cmp_le_u32_e64 s[38:39], v23, v24                        // 00000000A1D0: D0CB0026 00023117
	v_add_u32_e32 v23, 16, v23                                 // 00000000A1D8: 682E2E90
	s_nop 0                                                    // 00000000A1DC: BF800000
	v_cndmask_b32_e64 v47, v25, v47, s[38:39]                  // 00000000A1E0: D100002F 009A5F19

000000000000a1e8 <label_1FBA>:
	s_waitcnt lgkmcnt(0)                                       // 00000000A1E8: BF8CC07F
	s_barrier                                                  // 00000000A1EC: BF8A0000
	v_mov_b32_e32 v25, 0xff800000                              // 00000000A1F0: 7E3202FF FF800000
	s_and_b32 s56, s48, 0xff                                   // 00000000A1F8: 8638FF30 000000FF
	v_mov_b32_e32 v24, s56                                     // 00000000A200: 7E300238
	v_lshrrev_b32_e32 v20, 4, v0                               // 00000000A204: 20280084
	v_mul_i32_i24_e32 v20, 4, v20                              // 00000000A208: 0C282884
	v_add_u32_e32 v21, 1, v20                                  // 00000000A20C: 682A2881
	v_add_u32_e32 v22, 2, v20                                  // 00000000A210: 682C2882
	v_add_u32_e32 v23, 3, v20                                  // 00000000A214: 682E2883
	v_cmp_lt_u32_e64 s[38:39], v20, v24                        // 00000000A218: D0C90026 00023114
	v_add_u32_e32 v20, 16, v20                                 // 00000000A220: 68282890
	s_nop 0                                                    // 00000000A224: BF800000
	v_cndmask_b32_e64 v40, v25, v40, s[38:39]                  // 00000000A228: D1000028 009A5119
	v_cmp_lt_u32_e64 s[38:39], v21, v24                        // 00000000A230: D0C90026 00023115
	v_add_u32_e32 v21, 16, v21                                 // 00000000A238: 682A2A90
	s_nop 0                                                    // 00000000A23C: BF800000
	v_cndmask_b32_e64 v41, v25, v41, s[38:39]                  // 00000000A240: D1000029 009A5319
	v_cmp_lt_u32_e64 s[38:39], v22, v24                        // 00000000A248: D0C90026 00023116
	v_add_u32_e32 v22, 16, v22                                 // 00000000A250: 682C2C90
	s_nop 0                                                    // 00000000A254: BF800000
	v_cndmask_b32_e64 v42, v25, v42, s[38:39]                  // 00000000A258: D100002A 009A5519
	v_cmp_lt_u32_e64 s[38:39], v23, v24                        // 00000000A260: D0C90026 00023117
	v_add_u32_e32 v23, 16, v23                                 // 00000000A268: 682E2E90
	s_nop 0                                                    // 00000000A26C: BF800000
	v_cndmask_b32_e64 v43, v25, v43, s[38:39]                  // 00000000A270: D100002B 009A5719
	v_cmp_lt_u32_e64 s[38:39], v20, v24                        // 00000000A278: D0C90026 00023114
	v_add_u32_e32 v20, 16, v20                                 // 00000000A280: 68282890
	s_nop 0                                                    // 00000000A284: BF800000
	v_cndmask_b32_e64 v44, v25, v44, s[38:39]                  // 00000000A288: D100002C 009A5919
	v_cmp_lt_u32_e64 s[38:39], v21, v24                        // 00000000A290: D0C90026 00023115
	v_add_u32_e32 v21, 16, v21                                 // 00000000A298: 682A2A90
	s_nop 0                                                    // 00000000A29C: BF800000
	v_cndmask_b32_e64 v45, v25, v45, s[38:39]                  // 00000000A2A0: D100002D 009A5B19
	v_cmp_lt_u32_e64 s[38:39], v22, v24                        // 00000000A2A8: D0C90026 00023116
	v_add_u32_e32 v22, 16, v22                                 // 00000000A2B0: 682C2C90
	s_nop 0                                                    // 00000000A2B4: BF800000
	v_cndmask_b32_e64 v46, v25, v46, s[38:39]                  // 00000000A2B8: D100002E 009A5D19
	v_cmp_lt_u32_e64 s[38:39], v23, v24                        // 00000000A2C0: D0C90026 00023117
	v_add_u32_e32 v23, 16, v23                                 // 00000000A2C8: 682E2E90
	s_nop 0                                                    // 00000000A2CC: BF800000
	v_cndmask_b32_e64 v47, v25, v47, s[38:39]                  // 00000000A2D0: D100002F 009A5F19
	v_mfma_f32_16x16x32_fp8_fp8 v[48:51], a[72:73], a[36:37], 0// 00000000A2D8: D3F30030 1A024948
	v_mfma_f32_16x16x32_fp8_fp8 v[48:51], a[74:75], a[38:39], v[48:51]// 00000000A2E0: D3F30030 1CC24D4A
	v_max3_f32 v24, v40, v41, v40                              // 00000000A2E8: D1D30018 04A25328
	v_max3_f32 v24, v42, v43, v24                              // 00000000A2F0: D1D30018 0462572A
	v_max3_f32 v24, v44, v45, v24                              // 00000000A2F8: D1D30018 04625B2C
	v_max3_f32 v24, v46, v47, v24                              // 00000000A300: D1D30018 04625F2E
	ds_write_b32 v3, v24 offset:53504                          // 00000000A308: D81AD100 00001803
	v_mfma_f32_16x16x32_fp8_fp8 v[48:51], a[76:77], a[40:41], v[48:51]// 00000000A310: D3F30030 1CC2514C
	v_mfma_f32_16x16x32_fp8_fp8 v[48:51], a[78:79], a[42:43], v[48:51]// 00000000A318: D3F30030 1CC2554E
	v_mfma_f32_16x16x32_fp8_fp8 v[48:51], a[80:81], a[44:45], v[48:51]// 00000000A320: D3F30030 1CC25950
	v_mfma_f32_16x16x32_fp8_fp8 v[48:51], a[82:83], a[46:47], v[48:51]// 00000000A328: D3F30030 1CC25D52
	v_mfma_f32_16x16x32_fp8_fp8 v[48:51], a[84:85], a[48:49], v[48:51]// 00000000A330: D3F30030 1CC26154
	s_waitcnt lgkmcnt(0)                                       // 00000000A338: BF8CC07F
	ds_read_b32 v20, v2 offset:53504                           // 00000000A33C: D86CD100 14000002
	ds_read_b32 v21, v2 offset:53568                           // 00000000A344: D86CD140 15000002
	v_mfma_f32_16x16x32_fp8_fp8 v[48:51], a[86:87], a[50:51], v[48:51]// 00000000A34C: D3F30030 1CC26556
	ds_read_b32 v22, v2 offset:53632                           // 00000000A354: D86CD180 16000002
	ds_read_b32 v23, v2 offset:53696                           // 00000000A35C: D86CD1C0 17000002
	v_mfma_f32_16x16x32_fp8_fp8 v[48:51], a[88:89], a[52:53], v[48:51]// 00000000A364: D3F30030 1CC26958
	v_mfma_f32_16x16x32_fp8_fp8 v[48:51], a[90:91], a[54:55], v[48:51]// 00000000A36C: D3F30030 1CC26D5A
	v_mfma_f32_16x16x32_fp8_fp8 v[48:51], a[92:93], a[56:57], v[48:51]// 00000000A374: D3F30030 1CC2715C
	v_mfma_f32_16x16x32_fp8_fp8 v[48:51], a[94:95], a[58:59], v[48:51]// 00000000A37C: D3F30030 1CC2755E
	v_mfma_f32_16x16x32_fp8_fp8 v[48:51], a[96:97], a[60:61], v[48:51]// 00000000A384: D3F30030 1CC27960
	v_mfma_f32_16x16x32_fp8_fp8 v[48:51], a[98:99], a[62:63], v[48:51]// 00000000A38C: D3F30030 1CC27D62
	v_mfma_f32_16x16x32_fp8_fp8 v[48:51], a[100:101], a[64:65], v[48:51]// 00000000A394: D3F30030 1CC28164
	s_waitcnt lgkmcnt(0)                                       // 00000000A39C: BF8CC07F
	v_max3_f32 v24, v20, v21, v24                              // 00000000A3A0: D1D30018 04622B14
	v_max3_f32 v24, v22, v23, v24                              // 00000000A3A8: D1D30018 04622F16
	v_mfma_f32_16x16x32_fp8_fp8 v[48:51], a[102:103], a[66:67], v[48:51]// 00000000A3B0: D3F30030 1CC28566
	v_mfma_f32_16x16x32_fp8_fp8 v[48:51], a[104:105], a[68:69], v[48:51]// 00000000A3B8: D3F30030 1CC28968
	v_mfma_f32_16x16x32_fp8_fp8 v[48:51], a[106:107], a[70:71], v[48:51]// 00000000A3C0: D3F30030 1CC28D6A
	v_mfma_f32_16x16x32_fp8_fp8 v[52:55], a[108:109], a[36:37], 0// 00000000A3C8: D3F30034 1A02496C
	v_mfma_f32_16x16x32_fp8_fp8 v[52:55], a[110:111], a[38:39], v[52:55]// 00000000A3D0: D3F30034 1CD24D6E
	v_mfma_f32_16x16x32_fp8_fp8 v[52:55], a[112:113], a[40:41], v[52:55]// 00000000A3D8: D3F30034 1CD25170
	ds_read_b128 a[72:75], v7 offset:37120                     // 00000000A3E0: DBFE9100 48000007
	ds_read_b128 a[76:79], v7 offset:38144                     // 00000000A3E8: DBFE9500 4C000007
	v_mfma_f32_16x16x32_fp8_fp8 v[52:55], a[114:115], a[42:43], v[52:55]// 00000000A3F0: D3F30034 1CD25572
	v_mfma_f32_16x16x32_fp8_fp8 v[52:55], a[116:117], a[44:45], v[52:55]// 00000000A3F8: D3F30034 1CD25974
	v_mfma_f32_16x16x32_fp8_fp8 v[52:55], a[118:119], a[46:47], v[52:55]// 00000000A400: D3F30034 1CD25D76
	v_mfma_f32_16x16x32_fp8_fp8 v[52:55], a[120:121], a[48:49], v[52:55]// 00000000A408: D3F30034 1CD26178
	ds_read_b128 a[80:83], v7 offset:39168                     // 00000000A410: DBFE9900 50000007
	ds_read_b128 a[84:87], v7 offset:40192                     // 00000000A418: DBFE9D00 54000007
	v_mfma_f32_16x16x32_fp8_fp8 v[52:55], a[122:123], a[50:51], v[52:55]// 00000000A420: D3F30034 1CD2657A
	v_mfma_f32_16x16x32_fp8_fp8 v[52:55], a[124:125], a[52:53], v[52:55]// 00000000A428: D3F30034 1CD2697C
	v_mfma_f32_16x16x32_fp8_fp8 v[52:55], a[126:127], a[54:55], v[52:55]// 00000000A430: D3F30034 1CD26D7E
	v_mfma_f32_16x16x32_fp8_fp8 v[52:55], a[128:129], a[56:57], v[52:55]// 00000000A438: D3F30034 1CD27180
	ds_read_b128 a[88:91], v7 offset:41216                     // 00000000A440: DBFEA100 58000007
	ds_read_b128 a[92:95], v7 offset:42240                     // 00000000A448: DBFEA500 5C000007
	v_mfma_f32_16x16x32_fp8_fp8 v[52:55], a[130:131], a[58:59], v[52:55]// 00000000A450: D3F30034 1CD27582
	v_mfma_f32_16x16x32_fp8_fp8 v[52:55], a[132:133], a[60:61], v[52:55]// 00000000A458: D3F30034 1CD27984
	v_mfma_f32_16x16x32_fp8_fp8 v[52:55], a[134:135], a[62:63], v[52:55]// 00000000A460: D3F30034 1CD27D86
	v_mfma_f32_16x16x32_fp8_fp8 v[52:55], a[136:137], a[64:65], v[52:55]// 00000000A468: D3F30034 1CD28188
	ds_read_b128 a[96:99], v7 offset:43264                     // 00000000A470: DBFEA900 60000007
	ds_read_b128 a[100:103], v7 offset:44288                   // 00000000A478: DBFEAD00 64000007
	v_mfma_f32_16x16x32_fp8_fp8 v[52:55], a[138:139], a[66:67], v[52:55]// 00000000A480: D3F30034 1CD2858A
	v_mfma_f32_16x16x32_fp8_fp8 v[52:55], a[140:141], a[68:69], v[52:55]// 00000000A488: D3F30034 1CD2898C
	v_mfma_f32_16x16x32_fp8_fp8 v[52:55], a[142:143], a[70:71], v[52:55]// 00000000A490: D3F30034 1CD28D8E
	v_mov_b32_e32 v25, 0xff7fffff                              // 00000000A498: 7E3202FF FF7FFFFF
	v_cmp_eq_u32_e64 s[38:39], v25, v12                        // 00000000A4A0: D0CA0026 00021919
	v_max_f32_e32 v20, v24, v12                                // 00000000A4A8: 16281918
	v_sub_f32_e32 v16, v12, v20                                // 00000000A4AC: 0420290C
	v_cndmask_b32_e64 v16, v16, 0, s[38:39]                    // 00000000A4B0: D1000010 00990110
	v_mov_b32_e32 v12, v20                                     // 00000000A4B8: 7E180314
	v_mul_f32_e32 v21, s5, v20                                 // 00000000A4BC: 0A2A2805
	v_mul_f32_e32 v16, s5, v16                                 // 00000000A4C0: 0A202005
	v_exp_f32_e32 v16, v16                                     // 00000000A4C4: 7E204110
	v_fma_f32 v40, v40, s5, -v21                               // 00000000A4C8: D1CB0028 84540B28
	v_fma_f32 v41, v41, s5, -v21                               // 00000000A4D0: D1CB0029 84540B29
	v_fma_f32 v42, v42, s5, -v21                               // 00000000A4D8: D1CB002A 84540B2A
	v_fma_f32 v43, v43, s5, -v21                               // 00000000A4E0: D1CB002B 84540B2B
	v_fma_f32 v44, v44, s5, -v21                               // 00000000A4E8: D1CB002C 84540B2C
	v_fma_f32 v45, v45, s5, -v21                               // 00000000A4F0: D1CB002D 84540B2D
	v_fma_f32 v46, v46, s5, -v21                               // 00000000A4F8: D1CB002E 84540B2E
	v_fma_f32 v47, v47, s5, -v21                               // 00000000A500: D1CB002F 84540B2F
	v_exp_f32_e32 v40, v40                                     // 00000000A508: 7E504128
	v_exp_f32_e32 v41, v41                                     // 00000000A50C: 7E524129
	v_exp_f32_e32 v42, v42                                     // 00000000A510: 7E54412A
	v_exp_f32_e32 v43, v43                                     // 00000000A514: 7E56412B
	v_exp_f32_e32 v44, v44                                     // 00000000A518: 7E58412C
	v_exp_f32_e32 v45, v45                                     // 00000000A51C: 7E5A412D
	v_exp_f32_e32 v46, v46                                     // 00000000A520: 7E5C412E
	v_exp_f32_e32 v47, v47                                     // 00000000A524: 7E5E412F
	v_mul_f32_e32 v14, v16, v14                                // 00000000A528: 0A1C1D10
	v_mov_b32_e32 v22, v40                                     // 00000000A52C: 7E2C0328
	v_add_f32_e32 v22, v41, v22                                // 00000000A530: 022C2D29
	v_add_f32_e32 v22, v42, v22                                // 00000000A534: 022C2D2A
	v_add_f32_e32 v22, v43, v22                                // 00000000A538: 022C2D2B
	v_add_f32_e32 v22, v44, v22                                // 00000000A53C: 022C2D2C
	v_add_f32_e32 v22, v45, v22                                // 00000000A540: 022C2D2D
	v_add_f32_e32 v22, v46, v22                                // 00000000A544: 022C2D2E
	v_add_f32_e32 v22, v47, v22                                // 00000000A548: 022C2D2F
	v_add_f32_e32 v14, v22, v14                                // 00000000A54C: 021C1D16
	v_cvt_pk_fp8_f32 v40, v40, v41                             // 00000000A550: D2A20028 00025328
	v_cvt_pk_fp8_f32 v40, v42, v43 op_sel:[0,0,1]              // 00000000A558: D2A24028 0002572A
	v_cvt_pk_fp8_f32 v41, v44, v45                             // 00000000A560: D2A20029 00025B2C
	v_cvt_pk_fp8_f32 v41, v46, v47 op_sel:[0,0,1]              // 00000000A568: D2A24029 00025F2E
	s_nop 0                                                    // 00000000A570: BF800000
	s_cmp_le_i32 s83, s82                                      // 00000000A574: BF055253
	s_cbranch_scc1 label_20D9                                  // 00000000A578: BF85003A
	v_mov_b32_e32 v25, 0xff800000                              // 00000000A57C: 7E3202FF FF800000
	v_mov_b32_e32 v24, s82                                     // 00000000A584: 7E300252
	s_sub_u32 s56, s83, 31                                     // 00000000A588: 80B89F53
	v_lshrrev_b32_e32 v20, 4, v0                               // 00000000A58C: 20280084
	v_mul_i32_i24_e32 v20, 4, v20                              // 00000000A590: 0C282884
	v_add_u32_e32 v20, s56, v20                                // 00000000A594: 68282838
	v_add_u32_e32 v21, 1, v20                                  // 00000000A598: 682A2881
	v_add_u32_e32 v22, 2, v20                                  // 00000000A59C: 682C2882
	v_add_u32_e32 v23, 3, v20                                  // 00000000A5A0: 682E2883
	v_cmp_le_u32_e64 s[38:39], v20, v24                        // 00000000A5A4: D0CB0026 00023114
	v_add_u32_e32 v20, 16, v20                                 // 00000000A5AC: 68282890
	s_nop 0                                                    // 00000000A5B0: BF800000
	v_cndmask_b32_e64 v48, v25, v48, s[38:39]                  // 00000000A5B4: D1000030 009A6119
	v_cmp_le_u32_e64 s[38:39], v21, v24                        // 00000000A5BC: D0CB0026 00023115
	v_add_u32_e32 v21, 16, v21                                 // 00000000A5C4: 682A2A90
	s_nop 0                                                    // 00000000A5C8: BF800000
	v_cndmask_b32_e64 v49, v25, v49, s[38:39]                  // 00000000A5CC: D1000031 009A6319
	v_cmp_le_u32_e64 s[38:39], v22, v24                        // 00000000A5D4: D0CB0026 00023116
	v_add_u32_e32 v22, 16, v22                                 // 00000000A5DC: 682C2C90
	s_nop 0                                                    // 00000000A5E0: BF800000
	v_cndmask_b32_e64 v50, v25, v50, s[38:39]                  // 00000000A5E4: D1000032 009A6519
	v_cmp_le_u32_e64 s[38:39], v23, v24                        // 00000000A5EC: D0CB0026 00023117
	v_add_u32_e32 v23, 16, v23                                 // 00000000A5F4: 682E2E90
	s_nop 0                                                    // 00000000A5F8: BF800000
	v_cndmask_b32_e64 v51, v25, v51, s[38:39]                  // 00000000A5FC: D1000033 009A6719
	v_cmp_le_u32_e64 s[38:39], v20, v24                        // 00000000A604: D0CB0026 00023114
	v_add_u32_e32 v20, 16, v20                                 // 00000000A60C: 68282890
	s_nop 0                                                    // 00000000A610: BF800000
	v_cndmask_b32_e64 v52, v25, v52, s[38:39]                  // 00000000A614: D1000034 009A6919
	v_cmp_le_u32_e64 s[38:39], v21, v24                        // 00000000A61C: D0CB0026 00023115
	v_add_u32_e32 v21, 16, v21                                 // 00000000A624: 682A2A90
	s_nop 0                                                    // 00000000A628: BF800000
	v_cndmask_b32_e64 v53, v25, v53, s[38:39]                  // 00000000A62C: D1000035 009A6B19
	v_cmp_le_u32_e64 s[38:39], v22, v24                        // 00000000A634: D0CB0026 00023116
	v_add_u32_e32 v22, 16, v22                                 // 00000000A63C: 682C2C90
	s_nop 0                                                    // 00000000A640: BF800000
	v_cndmask_b32_e64 v54, v25, v54, s[38:39]                  // 00000000A644: D1000036 009A6D19
	v_cmp_le_u32_e64 s[38:39], v23, v24                        // 00000000A64C: D0CB0026 00023117
	v_add_u32_e32 v23, 16, v23                                 // 00000000A654: 682E2E90
	s_nop 0                                                    // 00000000A658: BF800000
	v_cndmask_b32_e64 v55, v25, v55, s[38:39]                  // 00000000A65C: D1000037 009A6F19

000000000000a664 <label_20D9>:
	s_add_u32 s83, s84, s83                                    // 00000000A664: 80535354
	s_nop 0                                                    // 00000000A668: BF800000
	v_mov_b32_e32 v22, v16                                     // 00000000A66C: 7E2C0310
	v_mov_b32_e32 v23, v16                                     // 00000000A670: 7E2E0310
	v_pk_mul_f32 v[56:57], v[22:23], v[56:57]                  // 00000000A674: D3B14038 18027116
	v_pk_mul_f32 v[58:59], v[22:23], v[58:59]                  // 00000000A67C: D3B1403A 18027516
	v_pk_mul_f32 v[60:61], v[22:23], v[60:61]                  // 00000000A684: D3B1403C 18027916
	v_pk_mul_f32 v[62:63], v[22:23], v[62:63]                  // 00000000A68C: D3B1403E 18027D16
	v_pk_mul_f32 v[64:65], v[22:23], v[64:65]                  // 00000000A694: D3B14040 18028116
	v_pk_mul_f32 v[66:67], v[22:23], v[66:67]                  // 00000000A69C: D3B14042 18028516
	v_pk_mul_f32 v[68:69], v[22:23], v[68:69]                  // 00000000A6A4: D3B14044 18028916
	v_pk_mul_f32 v[70:71], v[22:23], v[70:71]                  // 00000000A6AC: D3B14046 18028D16
	v_pk_mul_f32 v[72:73], v[22:23], v[72:73]                  // 00000000A6B4: D3B14048 18029116
	v_pk_mul_f32 v[74:75], v[22:23], v[74:75]                  // 00000000A6BC: D3B1404A 18029516
	v_pk_mul_f32 v[76:77], v[22:23], v[76:77]                  // 00000000A6C4: D3B1404C 18029916
	v_pk_mul_f32 v[78:79], v[22:23], v[78:79]                  // 00000000A6CC: D3B1404E 18029D16
	v_pk_mul_f32 v[80:81], v[22:23], v[80:81]                  // 00000000A6D4: D3B14050 1802A116
	v_pk_mul_f32 v[82:83], v[22:23], v[82:83]                  // 00000000A6DC: D3B14052 1802A516
	v_pk_mul_f32 v[84:85], v[22:23], v[84:85]                  // 00000000A6E4: D3B14054 1802A916
	v_pk_mul_f32 v[86:87], v[22:23], v[86:87]                  // 00000000A6EC: D3B14056 1802AD16
	v_pk_mul_f32 v[88:89], v[22:23], v[88:89]                  // 00000000A6F4: D3B14058 1802B116
	v_pk_mul_f32 v[90:91], v[22:23], v[90:91]                  // 00000000A6FC: D3B1405A 1802B516
	v_pk_mul_f32 v[92:93], v[22:23], v[92:93]                  // 00000000A704: D3B1405C 1802B916
	v_pk_mul_f32 v[94:95], v[22:23], v[94:95]                  // 00000000A70C: D3B1405E 1802BD16
	v_pk_mul_f32 v[96:97], v[22:23], v[96:97]                  // 00000000A714: D3B14060 1802C116
	v_pk_mul_f32 v[98:99], v[22:23], v[98:99]                  // 00000000A71C: D3B14062 1802C516
	v_pk_mul_f32 v[100:101], v[22:23], v[100:101]              // 00000000A724: D3B14064 1802C916
	v_pk_mul_f32 v[102:103], v[22:23], v[102:103]              // 00000000A72C: D3B14066 1802CD16
	v_pk_mul_f32 v[104:105], v[22:23], v[104:105]              // 00000000A734: D3B14068 1802D116
	v_pk_mul_f32 v[106:107], v[22:23], v[106:107]              // 00000000A73C: D3B1406A 1802D516
	v_pk_mul_f32 v[108:109], v[22:23], v[108:109]              // 00000000A744: D3B1406C 1802D916
	v_pk_mul_f32 v[110:111], v[22:23], v[110:111]              // 00000000A74C: D3B1406E 1802DD16
	v_pk_mul_f32 v[112:113], v[22:23], v[112:113]              // 00000000A754: D3B14070 1802E116
	v_pk_mul_f32 v[114:115], v[22:23], v[114:115]              // 00000000A75C: D3B14072 1802E516
	v_pk_mul_f32 v[116:117], v[22:23], v[116:117]              // 00000000A764: D3B14074 1802E916
	v_pk_mul_f32 v[118:119], v[22:23], v[118:119]              // 00000000A76C: D3B14076 1802ED16
	v_pk_mul_f32 v[120:121], v[22:23], v[120:121]              // 00000000A774: D3B14078 1802F116
	v_pk_mul_f32 v[122:123], v[22:23], v[122:123]              // 00000000A77C: D3B1407A 1802F516
	v_pk_mul_f32 v[124:125], v[22:23], v[124:125]              // 00000000A784: D3B1407C 1802F916
	v_pk_mul_f32 v[126:127], v[22:23], v[126:127]              // 00000000A78C: D3B1407E 1802FD16
	v_pk_mul_f32 v[128:129], v[22:23], v[128:129]              // 00000000A794: D3B14080 18030116
	v_pk_mul_f32 v[130:131], v[22:23], v[130:131]              // 00000000A79C: D3B14082 18030516
	v_pk_mul_f32 v[132:133], v[22:23], v[132:133]              // 00000000A7A4: D3B14084 18030916
	v_pk_mul_f32 v[134:135], v[22:23], v[134:135]              // 00000000A7AC: D3B14086 18030D16
	v_pk_mul_f32 v[136:137], v[22:23], v[136:137]              // 00000000A7B4: D3B14088 18031116
	v_pk_mul_f32 v[138:139], v[22:23], v[138:139]              // 00000000A7BC: D3B1408A 18031516
	v_pk_mul_f32 v[140:141], v[22:23], v[140:141]              // 00000000A7C4: D3B1408C 18031916
	v_pk_mul_f32 v[142:143], v[22:23], v[142:143]              // 00000000A7CC: D3B1408E 18031D16
	v_pk_mul_f32 v[144:145], v[22:23], v[144:145]              // 00000000A7D4: D3B14090 18032116
	v_pk_mul_f32 v[146:147], v[22:23], v[146:147]              // 00000000A7DC: D3B14092 18032516
	v_pk_mul_f32 v[148:149], v[22:23], v[148:149]              // 00000000A7E4: D3B14094 18032916
	v_pk_mul_f32 v[150:151], v[22:23], v[150:151]              // 00000000A7EC: D3B14096 18032D16
	v_pk_mul_f32 v[152:153], v[22:23], v[152:153]              // 00000000A7F4: D3B14098 18033116
	v_pk_mul_f32 v[154:155], v[22:23], v[154:155]              // 00000000A7FC: D3B1409A 18033516
	v_accvgpr_read_b32 v20, a144                               // 00000000A804: D3D84014 18000190
	v_accvgpr_read_b32 v21, a145                               // 00000000A80C: D3D84015 18000191
	v_pk_mul_f32 v[20:21], v[22:23], v[20:21]                  // 00000000A814: D3B14014 18022916
	v_accvgpr_write_b32 a144, v20                              // 00000000A81C: D3D94090 18000114
	v_accvgpr_write_b32 a145, v21                              // 00000000A824: D3D94091 18000115
	v_accvgpr_read_b32 v20, a146                               // 00000000A82C: D3D84014 18000192
	v_accvgpr_read_b32 v21, a147                               // 00000000A834: D3D84015 18000193
	v_pk_mul_f32 v[20:21], v[22:23], v[20:21]                  // 00000000A83C: D3B14014 18022916
	v_accvgpr_write_b32 a146, v20                              // 00000000A844: D3D94092 18000114
	v_accvgpr_write_b32 a147, v21                              // 00000000A84C: D3D94093 18000115
	v_accvgpr_read_b32 v20, a148                               // 00000000A854: D3D84014 18000194
	v_accvgpr_read_b32 v21, a149                               // 00000000A85C: D3D84015 18000195
	v_pk_mul_f32 v[20:21], v[22:23], v[20:21]                  // 00000000A864: D3B14014 18022916
	v_accvgpr_write_b32 a148, v20                              // 00000000A86C: D3D94094 18000114
	v_accvgpr_write_b32 a149, v21                              // 00000000A874: D3D94095 18000115
	v_accvgpr_read_b32 v20, a150                               // 00000000A87C: D3D84014 18000196
	v_accvgpr_read_b32 v21, a151                               // 00000000A884: D3D84015 18000197
	v_pk_mul_f32 v[20:21], v[22:23], v[20:21]                  // 00000000A88C: D3B14014 18022916
	v_accvgpr_write_b32 a150, v20                              // 00000000A894: D3D94096 18000114
	v_accvgpr_write_b32 a151, v21                              // 00000000A89C: D3D94097 18000115
	v_accvgpr_read_b32 v20, a152                               // 00000000A8A4: D3D84014 18000198
	v_accvgpr_read_b32 v21, a153                               // 00000000A8AC: D3D84015 18000199
	v_pk_mul_f32 v[20:21], v[22:23], v[20:21]                  // 00000000A8B4: D3B14014 18022916
	v_accvgpr_write_b32 a152, v20                              // 00000000A8BC: D3D94098 18000114
	v_accvgpr_write_b32 a153, v21                              // 00000000A8C4: D3D94099 18000115
	v_accvgpr_read_b32 v20, a154                               // 00000000A8CC: D3D84014 1800019A
	v_accvgpr_read_b32 v21, a155                               // 00000000A8D4: D3D84015 1800019B
	v_pk_mul_f32 v[20:21], v[22:23], v[20:21]                  // 00000000A8DC: D3B14014 18022916
	v_accvgpr_write_b32 a154, v20                              // 00000000A8E4: D3D9409A 18000114
	v_accvgpr_write_b32 a155, v21                              // 00000000A8EC: D3D9409B 18000115
	v_accvgpr_read_b32 v20, a156                               // 00000000A8F4: D3D84014 1800019C
	v_accvgpr_read_b32 v21, a157                               // 00000000A8FC: D3D84015 1800019D
	v_pk_mul_f32 v[20:21], v[22:23], v[20:21]                  // 00000000A904: D3B14014 18022916
	v_accvgpr_write_b32 a156, v20                              // 00000000A90C: D3D9409C 18000114
	v_accvgpr_write_b32 a157, v21                              // 00000000A914: D3D9409D 18000115
	v_accvgpr_read_b32 v20, a158                               // 00000000A91C: D3D84014 1800019E
	v_accvgpr_read_b32 v21, a159                               // 00000000A924: D3D84015 1800019F
	v_pk_mul_f32 v[20:21], v[22:23], v[20:21]                  // 00000000A92C: D3B14014 18022916
	v_accvgpr_write_b32 a158, v20                              // 00000000A934: D3D9409E 18000114
	v_accvgpr_write_b32 a159, v21                              // 00000000A93C: D3D9409F 18000115
	v_accvgpr_read_b32 v20, a160                               // 00000000A944: D3D84014 180001A0
	v_accvgpr_read_b32 v21, a161                               // 00000000A94C: D3D84015 180001A1
	v_pk_mul_f32 v[20:21], v[22:23], v[20:21]                  // 00000000A954: D3B14014 18022916
	v_accvgpr_write_b32 a160, v20                              // 00000000A95C: D3D940A0 18000114
	v_accvgpr_write_b32 a161, v21                              // 00000000A964: D3D940A1 18000115
	v_accvgpr_read_b32 v20, a162                               // 00000000A96C: D3D84014 180001A2
	v_accvgpr_read_b32 v21, a163                               // 00000000A974: D3D84015 180001A3
	v_pk_mul_f32 v[20:21], v[22:23], v[20:21]                  // 00000000A97C: D3B14014 18022916
	v_accvgpr_write_b32 a162, v20                              // 00000000A984: D3D940A2 18000114
	v_accvgpr_write_b32 a163, v21                              // 00000000A98C: D3D940A3 18000115
	v_accvgpr_read_b32 v20, a164                               // 00000000A994: D3D84014 180001A4
	v_accvgpr_read_b32 v21, a165                               // 00000000A99C: D3D84015 180001A5
	v_pk_mul_f32 v[20:21], v[22:23], v[20:21]                  // 00000000A9A4: D3B14014 18022916
	v_accvgpr_write_b32 a164, v20                              // 00000000A9AC: D3D940A4 18000114
	v_accvgpr_write_b32 a165, v21                              // 00000000A9B4: D3D940A5 18000115
	v_accvgpr_read_b32 v20, a166                               // 00000000A9BC: D3D84014 180001A6
	v_accvgpr_read_b32 v21, a167                               // 00000000A9C4: D3D84015 180001A7
	v_pk_mul_f32 v[20:21], v[22:23], v[20:21]                  // 00000000A9CC: D3B14014 18022916
	v_accvgpr_write_b32 a166, v20                              // 00000000A9D4: D3D940A6 18000114
	v_accvgpr_write_b32 a167, v21                              // 00000000A9DC: D3D940A7 18000115
	v_accvgpr_read_b32 v20, a168                               // 00000000A9E4: D3D84014 180001A8
	v_accvgpr_read_b32 v21, a169                               // 00000000A9EC: D3D84015 180001A9
	v_pk_mul_f32 v[20:21], v[22:23], v[20:21]                  // 00000000A9F4: D3B14014 18022916
	v_accvgpr_write_b32 a168, v20                              // 00000000A9FC: D3D940A8 18000114
	v_accvgpr_write_b32 a169, v21                              // 00000000AA04: D3D940A9 18000115
	v_accvgpr_read_b32 v20, a170                               // 00000000AA0C: D3D84014 180001AA
	v_accvgpr_read_b32 v21, a171                               // 00000000AA14: D3D84015 180001AB
	v_pk_mul_f32 v[20:21], v[22:23], v[20:21]                  // 00000000AA1C: D3B14014 18022916
	v_accvgpr_write_b32 a170, v20                              // 00000000AA24: D3D940AA 18000114
	v_accvgpr_write_b32 a171, v21                              // 00000000AA2C: D3D940AB 18000115
	s_waitcnt lgkmcnt(0)                                       // 00000000AA34: BF8CC07F
	v_mov_b32_e32 v25, 0xff800000                              // 00000000AA38: 7E3202FF FF800000
	s_and_b32 s56, s48, 0xff                                   // 00000000AA40: 8638FF30 000000FF
	v_mov_b32_e32 v24, s56                                     // 00000000AA48: 7E300238
	v_lshrrev_b32_e32 v20, 4, v0                               // 00000000AA4C: 20280084
	v_mul_i32_i24_e32 v20, 4, v20                              // 00000000AA50: 0C282884
	v_add_u32_e32 v21, 1, v20                                  // 00000000AA54: 682A2881
	v_add_u32_e32 v22, 2, v20                                  // 00000000AA58: 682C2882
	v_add_u32_e32 v23, 3, v20                                  // 00000000AA5C: 682E2883
	v_cmp_lt_u32_e64 s[38:39], v20, v24                        // 00000000AA60: D0C90026 00023114
	v_add_u32_e32 v20, 16, v20                                 // 00000000AA68: 68282890
	s_nop 0                                                    // 00000000AA6C: BF800000
	v_cndmask_b32_e64 v48, v25, v48, s[38:39]                  // 00000000AA70: D1000030 009A6119
	v_cmp_lt_u32_e64 s[38:39], v21, v24                        // 00000000AA78: D0C90026 00023115
	v_add_u32_e32 v21, 16, v21                                 // 00000000AA80: 682A2A90
	s_nop 0                                                    // 00000000AA84: BF800000
	v_cndmask_b32_e64 v49, v25, v49, s[38:39]                  // 00000000AA88: D1000031 009A6319
	v_cmp_lt_u32_e64 s[38:39], v22, v24                        // 00000000AA90: D0C90026 00023116
	v_add_u32_e32 v22, 16, v22                                 // 00000000AA98: 682C2C90
	s_nop 0                                                    // 00000000AA9C: BF800000
	v_cndmask_b32_e64 v50, v25, v50, s[38:39]                  // 00000000AAA0: D1000032 009A6519
	v_cmp_lt_u32_e64 s[38:39], v23, v24                        // 00000000AAA8: D0C90026 00023117
	v_add_u32_e32 v23, 16, v23                                 // 00000000AAB0: 682E2E90
	s_nop 0                                                    // 00000000AAB4: BF800000
	v_cndmask_b32_e64 v51, v25, v51, s[38:39]                  // 00000000AAB8: D1000033 009A6719
	v_cmp_lt_u32_e64 s[38:39], v20, v24                        // 00000000AAC0: D0C90026 00023114
	v_add_u32_e32 v20, 16, v20                                 // 00000000AAC8: 68282890
	s_nop 0                                                    // 00000000AACC: BF800000
	v_cndmask_b32_e64 v52, v25, v52, s[38:39]                  // 00000000AAD0: D1000034 009A6919
	v_cmp_lt_u32_e64 s[38:39], v21, v24                        // 00000000AAD8: D0C90026 00023115
	v_add_u32_e32 v21, 16, v21                                 // 00000000AAE0: 682A2A90
	s_nop 0                                                    // 00000000AAE4: BF800000
	v_cndmask_b32_e64 v53, v25, v53, s[38:39]                  // 00000000AAE8: D1000035 009A6B19
	v_cmp_lt_u32_e64 s[38:39], v22, v24                        // 00000000AAF0: D0C90026 00023116
	v_add_u32_e32 v22, 16, v22                                 // 00000000AAF8: 682C2C90
	s_nop 0                                                    // 00000000AAFC: BF800000
	v_cndmask_b32_e64 v54, v25, v54, s[38:39]                  // 00000000AB00: D1000036 009A6D19
	v_cmp_lt_u32_e64 s[38:39], v23, v24                        // 00000000AB08: D0C90026 00023117
	v_add_u32_e32 v23, 16, v23                                 // 00000000AB10: 682E2E90
	s_nop 0                                                    // 00000000AB14: BF800000
	v_cndmask_b32_e64 v55, v25, v55, s[38:39]                  // 00000000AB18: D1000037 009A6F19
	v_mfma_f32_16x16x32_fp8_fp8 v[56:59], a[72:73], v[40:41], v[56:59]// 00000000AB20: D3F30038 0CE25148
	ds_read_b128 a[104:107], v7 offset:45312                   // 00000000AB28: DBFEB100 68000007
	ds_read_b128 a[108:111], v7 offset:46336                   // 00000000AB30: DBFEB500 6C000007
	v_mfma_f32_16x16x32_fp8_fp8 v[60:63], a[74:75], v[40:41], v[60:63]// 00000000AB38: D3F3003C 0CF2514A
	v_mfma_f32_16x16x32_fp8_fp8 v[64:67], a[76:77], v[40:41], v[64:67]// 00000000AB40: D3F30040 0D02514C
	v_mfma_f32_16x16x32_fp8_fp8 v[68:71], a[78:79], v[40:41], v[68:71]// 00000000AB48: D3F30044 0D12514E
	v_mfma_f32_16x16x32_fp8_fp8 v[72:75], a[80:81], v[40:41], v[72:75]// 00000000AB50: D3F30048 0D225150
	ds_read_b128 a[112:115], v7 offset:47360                   // 00000000AB58: DBFEB900 70000007
	ds_read_b128 a[116:119], v7 offset:48384                   // 00000000AB60: DBFEBD00 74000007
	v_mfma_f32_16x16x32_fp8_fp8 v[76:79], a[82:83], v[40:41], v[76:79]// 00000000AB68: D3F3004C 0D325152
	v_mfma_f32_16x16x32_fp8_fp8 v[80:83], a[84:85], v[40:41], v[80:83]// 00000000AB70: D3F30050 0D425154
	v_mfma_f32_16x16x32_fp8_fp8 v[84:87], a[86:87], v[40:41], v[84:87]// 00000000AB78: D3F30054 0D525156
	v_mfma_f32_16x16x32_fp8_fp8 v[88:91], a[88:89], v[40:41], v[88:91]// 00000000AB80: D3F30058 0D625158
	ds_read_b128 a[120:123], v7 offset:49408                   // 00000000AB88: DBFEC100 78000007
	ds_read_b128 a[124:127], v7 offset:50432                   // 00000000AB90: DBFEC500 7C000007
	v_mfma_f32_16x16x32_fp8_fp8 v[92:95], a[90:91], v[40:41], v[92:95]// 00000000AB98: D3F3005C 0D72515A
	v_mfma_f32_16x16x32_fp8_fp8 v[96:99], a[92:93], v[40:41], v[96:99]// 00000000ABA0: D3F30060 0D82515C
	v_mfma_f32_16x16x32_fp8_fp8 v[100:103], a[94:95], v[40:41], v[100:103]// 00000000ABA8: D3F30064 0D92515E
	v_mfma_f32_16x16x32_fp8_fp8 v[104:107], a[96:97], v[40:41], v[104:107]// 00000000ABB0: D3F30068 0DA25160
	ds_read_b128 a[128:131], v7 offset:51456                   // 00000000ABB8: DBFEC900 80000007
	ds_read_b128 a[132:135], v7 offset:52480                   // 00000000ABC0: DBFECD00 84000007
	v_mfma_f32_16x16x32_fp8_fp8 v[108:111], a[98:99], v[40:41], v[108:111]// 00000000ABC8: D3F3006C 0DB25162
	v_mfma_f32_16x16x32_fp8_fp8 v[112:115], a[100:101], v[40:41], v[112:115]// 00000000ABD0: D3F30070 0DC25164
	v_mfma_f32_16x16x32_fp8_fp8 v[116:119], a[102:103], v[40:41], v[116:119]// 00000000ABD8: D3F30074 0DD25166
	s_waitcnt lgkmcnt(4)                                       // 00000000ABE0: BF8CC47F
	v_mfma_f32_16x16x32_fp8_fp8 v[120:123], a[104:105], v[40:41], v[120:123]// 00000000ABE4: D3F30078 0DE25168
	v_max3_f32 v24, v48, v49, v48                              // 00000000ABEC: D1D30018 04C26330
	v_max3_f32 v24, v50, v51, v24                              // 00000000ABF4: D1D30018 04626732
	v_max3_f32 v24, v52, v53, v24                              // 00000000ABFC: D1D30018 04626B34
	v_max3_f32 v24, v54, v55, v24                              // 00000000AC04: D1D30018 04626F36
	ds_write_b32 v3, v24 offset:54528                          // 00000000AC0C: D81AD500 00001803
	v_mfma_f32_16x16x32_fp8_fp8 v[124:127], a[106:107], v[40:41], v[124:127]// 00000000AC14: D3F3007C 0DF2516A
	v_mfma_f32_16x16x32_fp8_fp8 v[128:131], a[108:109], v[40:41], v[128:131]// 00000000AC1C: D3F30080 0E02516C
	v_mfma_f32_16x16x32_fp8_fp8 v[132:135], a[110:111], v[40:41], v[132:135]// 00000000AC24: D3F30084 0E12516E
	v_mfma_f32_16x16x32_fp8_fp8 v[136:139], a[112:113], v[40:41], v[136:139]// 00000000AC2C: D3F30088 0E225170
	v_mfma_f32_16x16x32_fp8_fp8 v[140:143], a[114:115], v[40:41], v[140:143]// 00000000AC34: D3F3008C 0E325172
	v_mfma_f32_16x16x32_fp8_fp8 v[144:147], a[116:117], v[40:41], v[144:147]// 00000000AC3C: D3F30090 0E425174
	v_mfma_f32_16x16x32_fp8_fp8 v[148:151], a[118:119], v[40:41], v[148:151]// 00000000AC44: D3F30094 0E525176
	s_waitcnt lgkmcnt(0)                                       // 00000000AC4C: BF8CC07F
	v_mfma_f32_16x16x32_fp8_fp8 v[152:155], a[120:121], v[40:41], v[152:155]// 00000000AC50: D3F30098 0E625178
	s_waitcnt lgkmcnt(0)                                       // 00000000AC58: BF8CC07F
	ds_read_b32 v20, v2 offset:54528                           // 00000000AC5C: D86CD500 14000002
	ds_read_b32 v21, v2 offset:54592                           // 00000000AC64: D86CD540 15000002
	v_mfma_f32_16x16x32_fp8_fp8 a[144:147], a[122:123], v[40:41], a[144:147]// 00000000AC6C: D3F38090 0E42517A
	ds_read_b32 v22, v2 offset:54656                           // 00000000AC74: D86CD580 16000002
	ds_read_b32 v23, v2 offset:54720                           // 00000000AC7C: D86CD5C0 17000002
	v_mfma_f32_16x16x32_fp8_fp8 a[148:151], a[124:125], v[40:41], a[148:151]// 00000000AC84: D3F38094 0E52517C
	v_mfma_f32_16x16x32_fp8_fp8 a[152:155], a[126:127], v[40:41], a[152:155]// 00000000AC8C: D3F38098 0E62517E
	v_mfma_f32_16x16x32_fp8_fp8 a[156:159], a[128:129], v[40:41], a[156:159]// 00000000AC94: D3F3809C 0E725180
	v_mfma_f32_16x16x32_fp8_fp8 a[160:163], a[130:131], v[40:41], a[160:163]// 00000000AC9C: D3F380A0 0E825182
	v_mfma_f32_16x16x32_fp8_fp8 a[164:167], a[132:133], v[40:41], a[164:167]// 00000000ACA4: D3F380A4 0E925184
	v_mfma_f32_16x16x32_fp8_fp8 a[168:171], a[134:135], v[40:41], a[168:171]// 00000000ACAC: D3F380A8 0EA25186
	s_waitcnt lgkmcnt(0)                                       // 00000000ACB4: BF8CC07F
	v_max3_f32 v24, v20, v21, v24                              // 00000000ACB8: D1D30018 04622B14
	v_max3_f32 v24, v22, v23, v24                              // 00000000ACC0: D1D30018 04622F16
	v_mov_b32_e32 v25, 0xff7fffff                              // 00000000ACC8: 7E3202FF FF7FFFFF
	v_cmp_eq_u32_e64 s[38:39], v25, v13                        // 00000000ACD0: D0CA0026 00021B19
	v_max_f32_e32 v20, v24, v13                                // 00000000ACD8: 16281B18
	v_sub_f32_e32 v17, v13, v20                                // 00000000ACDC: 0422290D
	v_cndmask_b32_e64 v17, v17, 0, s[38:39]                    // 00000000ACE0: D1000011 00990111
	v_mov_b32_e32 v13, v20                                     // 00000000ACE8: 7E1A0314
	v_mul_f32_e32 v21, s5, v20                                 // 00000000ACEC: 0A2A2805
	v_mul_f32_e32 v17, s5, v17                                 // 00000000ACF0: 0A222205
	v_exp_f32_e32 v17, v17                                     // 00000000ACF4: 7E224111
	v_fma_f32 v48, v48, s5, -v21                               // 00000000ACF8: D1CB0030 84540B30
	v_fma_f32 v49, v49, s5, -v21                               // 00000000AD00: D1CB0031 84540B31
	v_fma_f32 v50, v50, s5, -v21                               // 00000000AD08: D1CB0032 84540B32
	v_fma_f32 v51, v51, s5, -v21                               // 00000000AD10: D1CB0033 84540B33
	v_fma_f32 v52, v52, s5, -v21                               // 00000000AD18: D1CB0034 84540B34
	v_fma_f32 v53, v53, s5, -v21                               // 00000000AD20: D1CB0035 84540B35
	v_fma_f32 v54, v54, s5, -v21                               // 00000000AD28: D1CB0036 84540B36
	v_fma_f32 v55, v55, s5, -v21                               // 00000000AD30: D1CB0037 84540B37
	v_exp_f32_e32 v48, v48                                     // 00000000AD38: 7E604130
	v_exp_f32_e32 v49, v49                                     // 00000000AD3C: 7E624131
	v_exp_f32_e32 v50, v50                                     // 00000000AD40: 7E644132
	v_exp_f32_e32 v51, v51                                     // 00000000AD44: 7E664133
	v_exp_f32_e32 v52, v52                                     // 00000000AD48: 7E684134
	v_exp_f32_e32 v53, v53                                     // 00000000AD4C: 7E6A4135
	v_exp_f32_e32 v54, v54                                     // 00000000AD50: 7E6C4136
	v_exp_f32_e32 v55, v55                                     // 00000000AD54: 7E6E4137
	v_mul_f32_e32 v15, v17, v15                                // 00000000AD58: 0A1E1F11
	v_mov_b32_e32 v22, v48                                     // 00000000AD5C: 7E2C0330
	v_add_f32_e32 v22, v49, v22                                // 00000000AD60: 022C2D31
	v_add_f32_e32 v22, v50, v22                                // 00000000AD64: 022C2D32
	v_add_f32_e32 v22, v51, v22                                // 00000000AD68: 022C2D33
	v_add_f32_e32 v22, v52, v22                                // 00000000AD6C: 022C2D34
	v_add_f32_e32 v22, v53, v22                                // 00000000AD70: 022C2D35
	v_add_f32_e32 v22, v54, v22                                // 00000000AD74: 022C2D36
	v_add_f32_e32 v22, v55, v22                                // 00000000AD78: 022C2D37
	v_add_f32_e32 v15, v22, v15                                // 00000000AD7C: 021E1F16
	v_cvt_pk_fp8_f32 v42, v48, v49                             // 00000000AD80: D2A2002A 00026330
	v_cvt_pk_fp8_f32 v42, v50, v51 op_sel:[0,0,1]              // 00000000AD88: D2A2402A 00026732
	v_cvt_pk_fp8_f32 v43, v52, v53                             // 00000000AD90: D2A2002B 00026B34
	v_cvt_pk_fp8_f32 v43, v54, v55 op_sel:[0,0,1]              // 00000000AD98: D2A2402B 00026F36
	s_nop 0                                                    // 00000000ADA0: BF800000
	v_mov_b32_e32 v22, v17                                     // 00000000ADA4: 7E2C0311
	v_mov_b32_e32 v23, v17                                     // 00000000ADA8: 7E2E0311
	v_pk_mul_f32 v[156:157], v[22:23], v[156:157]              // 00000000ADAC: D3B1409C 18033916
	v_pk_mul_f32 v[158:159], v[22:23], v[158:159]              // 00000000ADB4: D3B1409E 18033D16
	v_pk_mul_f32 v[160:161], v[22:23], v[160:161]              // 00000000ADBC: D3B140A0 18034116
	v_pk_mul_f32 v[162:163], v[22:23], v[162:163]              // 00000000ADC4: D3B140A2 18034516
	v_pk_mul_f32 v[164:165], v[22:23], v[164:165]              // 00000000ADCC: D3B140A4 18034916
	v_pk_mul_f32 v[166:167], v[22:23], v[166:167]              // 00000000ADD4: D3B140A6 18034D16
	v_pk_mul_f32 v[168:169], v[22:23], v[168:169]              // 00000000ADDC: D3B140A8 18035116
	v_pk_mul_f32 v[170:171], v[22:23], v[170:171]              // 00000000ADE4: D3B140AA 18035516
	v_pk_mul_f32 v[172:173], v[22:23], v[172:173]              // 00000000ADEC: D3B140AC 18035916
	v_pk_mul_f32 v[174:175], v[22:23], v[174:175]              // 00000000ADF4: D3B140AE 18035D16
	v_pk_mul_f32 v[176:177], v[22:23], v[176:177]              // 00000000ADFC: D3B140B0 18036116
	v_pk_mul_f32 v[178:179], v[22:23], v[178:179]              // 00000000AE04: D3B140B2 18036516
	v_pk_mul_f32 v[180:181], v[22:23], v[180:181]              // 00000000AE0C: D3B140B4 18036916
	v_pk_mul_f32 v[182:183], v[22:23], v[182:183]              // 00000000AE14: D3B140B6 18036D16
	v_pk_mul_f32 v[184:185], v[22:23], v[184:185]              // 00000000AE1C: D3B140B8 18037116
	v_pk_mul_f32 v[186:187], v[22:23], v[186:187]              // 00000000AE24: D3B140BA 18037516
	v_pk_mul_f32 v[188:189], v[22:23], v[188:189]              // 00000000AE2C: D3B140BC 18037916
	v_pk_mul_f32 v[190:191], v[22:23], v[190:191]              // 00000000AE34: D3B140BE 18037D16
	v_pk_mul_f32 v[192:193], v[22:23], v[192:193]              // 00000000AE3C: D3B140C0 18038116
	v_pk_mul_f32 v[194:195], v[22:23], v[194:195]              // 00000000AE44: D3B140C2 18038516
	v_pk_mul_f32 v[196:197], v[22:23], v[196:197]              // 00000000AE4C: D3B140C4 18038916
	v_pk_mul_f32 v[198:199], v[22:23], v[198:199]              // 00000000AE54: D3B140C6 18038D16
	v_pk_mul_f32 v[200:201], v[22:23], v[200:201]              // 00000000AE5C: D3B140C8 18039116
	v_pk_mul_f32 v[202:203], v[22:23], v[202:203]              // 00000000AE64: D3B140CA 18039516
	v_pk_mul_f32 v[204:205], v[22:23], v[204:205]              // 00000000AE6C: D3B140CC 18039916
	v_pk_mul_f32 v[206:207], v[22:23], v[206:207]              // 00000000AE74: D3B140CE 18039D16
	v_pk_mul_f32 v[208:209], v[22:23], v[208:209]              // 00000000AE7C: D3B140D0 1803A116
	v_pk_mul_f32 v[210:211], v[22:23], v[210:211]              // 00000000AE84: D3B140D2 1803A516
	v_pk_mul_f32 v[212:213], v[22:23], v[212:213]              // 00000000AE8C: D3B140D4 1803A916
	v_pk_mul_f32 v[214:215], v[22:23], v[214:215]              // 00000000AE94: D3B140D6 1803AD16
	v_pk_mul_f32 v[216:217], v[22:23], v[216:217]              // 00000000AE9C: D3B140D8 1803B116
	v_pk_mul_f32 v[218:219], v[22:23], v[218:219]              // 00000000AEA4: D3B140DA 1803B516
	v_pk_mul_f32 v[220:221], v[22:23], v[220:221]              // 00000000AEAC: D3B140DC 1803B916
	v_pk_mul_f32 v[222:223], v[22:23], v[222:223]              // 00000000AEB4: D3B140DE 1803BD16
	v_pk_mul_f32 v[224:225], v[22:23], v[224:225]              // 00000000AEBC: D3B140E0 1803C116
	v_pk_mul_f32 v[226:227], v[22:23], v[226:227]              // 00000000AEC4: D3B140E2 1803C516
	v_pk_mul_f32 v[228:229], v[22:23], v[228:229]              // 00000000AECC: D3B140E4 1803C916
	v_pk_mul_f32 v[230:231], v[22:23], v[230:231]              // 00000000AED4: D3B140E6 1803CD16
	v_pk_mul_f32 v[232:233], v[22:23], v[232:233]              // 00000000AEDC: D3B140E8 1803D116
	v_pk_mul_f32 v[234:235], v[22:23], v[234:235]              // 00000000AEE4: D3B140EA 1803D516
	v_pk_mul_f32 v[236:237], v[22:23], v[236:237]              // 00000000AEEC: D3B140EC 1803D916
	v_pk_mul_f32 v[238:239], v[22:23], v[238:239]              // 00000000AEF4: D3B140EE 1803DD16
	v_pk_mul_f32 v[240:241], v[22:23], v[240:241]              // 00000000AEFC: D3B140F0 1803E116
	v_pk_mul_f32 v[242:243], v[22:23], v[242:243]              // 00000000AF04: D3B140F2 1803E516
	v_pk_mul_f32 v[244:245], v[22:23], v[244:245]              // 00000000AF0C: D3B140F4 1803E916
	v_pk_mul_f32 v[246:247], v[22:23], v[246:247]              // 00000000AF14: D3B140F6 1803ED16
	v_pk_mul_f32 v[248:249], v[22:23], v[248:249]              // 00000000AF1C: D3B140F8 1803F116
	v_pk_mul_f32 v[250:251], v[22:23], v[250:251]              // 00000000AF24: D3B140FA 1803F516
	v_pk_mul_f32 v[252:253], v[22:23], v[252:253]              // 00000000AF2C: D3B140FC 1803F916
	v_pk_mul_f32 v[254:255], v[22:23], v[254:255]              // 00000000AF34: D3B140FE 1803FD16
	v_accvgpr_read_b32 v20, a172                               // 00000000AF3C: D3D84014 180001AC
	v_accvgpr_read_b32 v21, a173                               // 00000000AF44: D3D84015 180001AD
	v_pk_mul_f32 v[20:21], v[22:23], v[20:21]                  // 00000000AF4C: D3B14014 18022916
	v_accvgpr_write_b32 a172, v20                              // 00000000AF54: D3D940AC 18000114
	v_accvgpr_write_b32 a173, v21                              // 00000000AF5C: D3D940AD 18000115
	v_accvgpr_read_b32 v20, a174                               // 00000000AF64: D3D84014 180001AE
	v_accvgpr_read_b32 v21, a175                               // 00000000AF6C: D3D84015 180001AF
	v_pk_mul_f32 v[20:21], v[22:23], v[20:21]                  // 00000000AF74: D3B14014 18022916
	v_accvgpr_write_b32 a174, v20                              // 00000000AF7C: D3D940AE 18000114
	v_accvgpr_write_b32 a175, v21                              // 00000000AF84: D3D940AF 18000115
	v_accvgpr_read_b32 v20, a176                               // 00000000AF8C: D3D84014 180001B0
	v_accvgpr_read_b32 v21, a177                               // 00000000AF94: D3D84015 180001B1
	v_pk_mul_f32 v[20:21], v[22:23], v[20:21]                  // 00000000AF9C: D3B14014 18022916
	v_accvgpr_write_b32 a176, v20                              // 00000000AFA4: D3D940B0 18000114
	v_accvgpr_write_b32 a177, v21                              // 00000000AFAC: D3D940B1 18000115
	v_accvgpr_read_b32 v20, a178                               // 00000000AFB4: D3D84014 180001B2
	v_accvgpr_read_b32 v21, a179                               // 00000000AFBC: D3D84015 180001B3
	v_pk_mul_f32 v[20:21], v[22:23], v[20:21]                  // 00000000AFC4: D3B14014 18022916
	v_accvgpr_write_b32 a178, v20                              // 00000000AFCC: D3D940B2 18000114
	v_accvgpr_write_b32 a179, v21                              // 00000000AFD4: D3D940B3 18000115
	v_accvgpr_read_b32 v20, a180                               // 00000000AFDC: D3D84014 180001B4
	v_accvgpr_read_b32 v21, a181                               // 00000000AFE4: D3D84015 180001B5
	v_pk_mul_f32 v[20:21], v[22:23], v[20:21]                  // 00000000AFEC: D3B14014 18022916
	v_accvgpr_write_b32 a180, v20                              // 00000000AFF4: D3D940B4 18000114
	v_accvgpr_write_b32 a181, v21                              // 00000000AFFC: D3D940B5 18000115
	v_accvgpr_read_b32 v20, a182                               // 00000000B004: D3D84014 180001B6
	v_accvgpr_read_b32 v21, a183                               // 00000000B00C: D3D84015 180001B7
	v_pk_mul_f32 v[20:21], v[22:23], v[20:21]                  // 00000000B014: D3B14014 18022916
	v_accvgpr_write_b32 a182, v20                              // 00000000B01C: D3D940B6 18000114
	v_accvgpr_write_b32 a183, v21                              // 00000000B024: D3D940B7 18000115
	v_accvgpr_read_b32 v20, a184                               // 00000000B02C: D3D84014 180001B8
	v_accvgpr_read_b32 v21, a185                               // 00000000B034: D3D84015 180001B9
	v_pk_mul_f32 v[20:21], v[22:23], v[20:21]                  // 00000000B03C: D3B14014 18022916
	v_accvgpr_write_b32 a184, v20                              // 00000000B044: D3D940B8 18000114
	v_accvgpr_write_b32 a185, v21                              // 00000000B04C: D3D940B9 18000115
	v_accvgpr_read_b32 v20, a186                               // 00000000B054: D3D84014 180001BA
	v_accvgpr_read_b32 v21, a187                               // 00000000B05C: D3D84015 180001BB
	v_pk_mul_f32 v[20:21], v[22:23], v[20:21]                  // 00000000B064: D3B14014 18022916
	v_accvgpr_write_b32 a186, v20                              // 00000000B06C: D3D940BA 18000114
	v_accvgpr_write_b32 a187, v21                              // 00000000B074: D3D940BB 18000115
	v_accvgpr_read_b32 v20, a188                               // 00000000B07C: D3D84014 180001BC
	v_accvgpr_read_b32 v21, a189                               // 00000000B084: D3D84015 180001BD
	v_pk_mul_f32 v[20:21], v[22:23], v[20:21]                  // 00000000B08C: D3B14014 18022916
	v_accvgpr_write_b32 a188, v20                              // 00000000B094: D3D940BC 18000114
	v_accvgpr_write_b32 a189, v21                              // 00000000B09C: D3D940BD 18000115
	v_accvgpr_read_b32 v20, a190                               // 00000000B0A4: D3D84014 180001BE
	v_accvgpr_read_b32 v21, a191                               // 00000000B0AC: D3D84015 180001BF
	v_pk_mul_f32 v[20:21], v[22:23], v[20:21]                  // 00000000B0B4: D3B14014 18022916
	v_accvgpr_write_b32 a190, v20                              // 00000000B0BC: D3D940BE 18000114
	v_accvgpr_write_b32 a191, v21                              // 00000000B0C4: D3D940BF 18000115
	v_accvgpr_read_b32 v20, a192                               // 00000000B0CC: D3D84014 180001C0
	v_accvgpr_read_b32 v21, a193                               // 00000000B0D4: D3D84015 180001C1
	v_pk_mul_f32 v[20:21], v[22:23], v[20:21]                  // 00000000B0DC: D3B14014 18022916
	v_accvgpr_write_b32 a192, v20                              // 00000000B0E4: D3D940C0 18000114
	v_accvgpr_write_b32 a193, v21                              // 00000000B0EC: D3D940C1 18000115
	v_accvgpr_read_b32 v20, a194                               // 00000000B0F4: D3D84014 180001C2
	v_accvgpr_read_b32 v21, a195                               // 00000000B0FC: D3D84015 180001C3
	v_pk_mul_f32 v[20:21], v[22:23], v[20:21]                  // 00000000B104: D3B14014 18022916
	v_accvgpr_write_b32 a194, v20                              // 00000000B10C: D3D940C2 18000114
	v_accvgpr_write_b32 a195, v21                              // 00000000B114: D3D940C3 18000115
	v_accvgpr_read_b32 v20, a196                               // 00000000B11C: D3D84014 180001C4
	v_accvgpr_read_b32 v21, a197                               // 00000000B124: D3D84015 180001C5
	v_pk_mul_f32 v[20:21], v[22:23], v[20:21]                  // 00000000B12C: D3B14014 18022916
	v_accvgpr_write_b32 a196, v20                              // 00000000B134: D3D940C4 18000114
	v_accvgpr_write_b32 a197, v21                              // 00000000B13C: D3D940C5 18000115
	v_accvgpr_read_b32 v20, a198                               // 00000000B144: D3D84014 180001C6
	v_accvgpr_read_b32 v21, a199                               // 00000000B14C: D3D84015 180001C7
	v_pk_mul_f32 v[20:21], v[22:23], v[20:21]                  // 00000000B154: D3B14014 18022916
	v_accvgpr_write_b32 a198, v20                              // 00000000B15C: D3D940C6 18000114
	v_accvgpr_write_b32 a199, v21                              // 00000000B164: D3D940C7 18000115
	s_waitcnt vmcnt(18) lgkmcnt(0)                             // 00000000B16C: BF8C4072
	s_barrier                                                  // 00000000B170: BF8A0000
	v_mfma_f32_16x16x32_fp8_fp8 v[156:159], a[72:73], v[42:43], v[156:159]// 00000000B174: D3F3009C 0E725548
	v_mfma_f32_16x16x32_fp8_fp8 v[160:163], a[74:75], v[42:43], v[160:163]// 00000000B17C: D3F300A0 0E82554A
	v_mfma_f32_16x16x32_fp8_fp8 v[164:167], a[76:77], v[42:43], v[164:167]// 00000000B184: D3F300A4 0E92554C
	v_mfma_f32_16x16x32_fp8_fp8 v[168:171], a[78:79], v[42:43], v[168:171]// 00000000B18C: D3F300A8 0EA2554E
	v_mfma_f32_16x16x32_fp8_fp8 v[172:175], a[80:81], v[42:43], v[172:175]// 00000000B194: D3F300AC 0EB25550
	v_mfma_f32_16x16x32_fp8_fp8 v[176:179], a[82:83], v[42:43], v[176:179]// 00000000B19C: D3F300B0 0EC25552
	v_mfma_f32_16x16x32_fp8_fp8 v[180:183], a[84:85], v[42:43], v[180:183]// 00000000B1A4: D3F300B4 0ED25554
	v_mfma_f32_16x16x32_fp8_fp8 v[184:187], a[86:87], v[42:43], v[184:187]// 00000000B1AC: D3F300B8 0EE25556
	v_mfma_f32_16x16x32_fp8_fp8 v[188:191], a[88:89], v[42:43], v[188:191]// 00000000B1B4: D3F300BC 0EF25558
	v_mfma_f32_16x16x32_fp8_fp8 v[192:195], a[90:91], v[42:43], v[192:195]// 00000000B1BC: D3F300C0 0F02555A
	v_mfma_f32_16x16x32_fp8_fp8 v[196:199], a[92:93], v[42:43], v[196:199]// 00000000B1C4: D3F300C4 0F12555C
	v_mfma_f32_16x16x32_fp8_fp8 v[200:203], a[94:95], v[42:43], v[200:203]// 00000000B1CC: D3F300C8 0F22555E
	v_mfma_f32_16x16x32_fp8_fp8 v[204:207], a[96:97], v[42:43], v[204:207]// 00000000B1D4: D3F300CC 0F325560
	v_mfma_f32_16x16x32_fp8_fp8 v[208:211], a[98:99], v[42:43], v[208:211]// 00000000B1DC: D3F300D0 0F425562
	v_mfma_f32_16x16x32_fp8_fp8 v[212:215], a[100:101], v[42:43], v[212:215]// 00000000B1E4: D3F300D4 0F525564
	v_mfma_f32_16x16x32_fp8_fp8 v[216:219], a[102:103], v[42:43], v[216:219]// 00000000B1EC: D3F300D8 0F625566
	v_mfma_f32_16x16x32_fp8_fp8 v[220:223], a[104:105], v[42:43], v[220:223]// 00000000B1F4: D3F300DC 0F725568
	v_mfma_f32_16x16x32_fp8_fp8 v[224:227], a[106:107], v[42:43], v[224:227]// 00000000B1FC: D3F300E0 0F82556A
	v_mfma_f32_16x16x32_fp8_fp8 v[228:231], a[108:109], v[42:43], v[228:231]// 00000000B204: D3F300E4 0F92556C
	v_mfma_f32_16x16x32_fp8_fp8 v[232:235], a[110:111], v[42:43], v[232:235]// 00000000B20C: D3F300E8 0FA2556E
	v_mfma_f32_16x16x32_fp8_fp8 v[236:239], a[112:113], v[42:43], v[236:239]// 00000000B214: D3F300EC 0FB25570
	v_mfma_f32_16x16x32_fp8_fp8 v[240:243], a[114:115], v[42:43], v[240:243]// 00000000B21C: D3F300F0 0FC25572
	v_mfma_f32_16x16x32_fp8_fp8 v[244:247], a[116:117], v[42:43], v[244:247]// 00000000B224: D3F300F4 0FD25574
	v_mfma_f32_16x16x32_fp8_fp8 v[248:251], a[118:119], v[42:43], v[248:251]// 00000000B22C: D3F300F8 0FE25576
	v_mfma_f32_16x16x32_fp8_fp8 v[252:255], a[120:121], v[42:43], v[252:255]// 00000000B234: D3F300FC 0FF25578
	v_mfma_f32_16x16x32_fp8_fp8 a[172:175], a[122:123], v[42:43], a[172:175]// 00000000B23C: D3F380AC 0EB2557A
	v_mfma_f32_16x16x32_fp8_fp8 a[176:179], a[124:125], v[42:43], a[176:179]// 00000000B244: D3F380B0 0EC2557C
	v_mfma_f32_16x16x32_fp8_fp8 a[180:183], a[126:127], v[42:43], a[180:183]// 00000000B24C: D3F380B4 0ED2557E
	v_mfma_f32_16x16x32_fp8_fp8 a[184:187], a[128:129], v[42:43], a[184:187]// 00000000B254: D3F380B8 0EE25580
	v_mfma_f32_16x16x32_fp8_fp8 a[188:191], a[130:131], v[42:43], a[188:191]// 00000000B25C: D3F380BC 0EF25582
	v_mfma_f32_16x16x32_fp8_fp8 a[192:195], a[132:133], v[42:43], a[192:195]// 00000000B264: D3F380C0 0F025584
	v_mfma_f32_16x16x32_fp8_fp8 a[196:199], a[134:135], v[42:43], a[196:199]// 00000000B26C: D3F380C4 0F125586
	s_nop 8                                                    // 00000000B274: BF800008
	s_branch label_23DF                                        // 00000000B278: BF820000

000000000000b27c <label_23DF>:
	ds_write_b32 v3, v14 offset:55552                          // 00000000B27C: D81AD900 00000E03
	ds_write_b32 v3, v15 offset:56576                          // 00000000B284: D81ADD00 00000F03
	s_waitcnt lgkmcnt(0)                                       // 00000000B28C: BF8CC07F
	ds_read_b32 v20, v2 offset:55552                           // 00000000B290: D86CD900 14000002
	ds_read_b32 v21, v2 offset:55616                           // 00000000B298: D86CD940 15000002
	ds_read_b32 v22, v2 offset:55680                           // 00000000B2A0: D86CD980 16000002
	ds_read_b32 v23, v2 offset:55744                           // 00000000B2A8: D86CD9C0 17000002
	ds_read_b32 v24, v2 offset:56576                           // 00000000B2B0: D86CDD00 18000002
	ds_read_b32 v25, v2 offset:56640                           // 00000000B2B8: D86CDD40 19000002
	ds_read_b32 v26, v2 offset:56704                           // 00000000B2C0: D86CDD80 1A000002
	ds_read_b32 v27, v2 offset:56768                           // 00000000B2C8: D86CDDC0 1B000002
	s_waitcnt lgkmcnt(0)                                       // 00000000B2D0: BF8CC07F
	v_mov_b32_e32 v14, 0                                       // 00000000B2D4: 7E1C0280
	v_mov_b32_e32 v15, 0                                       // 00000000B2D8: 7E1E0280
	v_add_f32_e32 v14, v20, v14                                // 00000000B2DC: 021C1D14
	v_add_f32_e32 v15, v24, v15                                // 00000000B2E0: 021E1F18
	v_add_f32_e32 v14, v21, v14                                // 00000000B2E4: 021C1D15
	v_add_f32_e32 v15, v25, v15                                // 00000000B2E8: 021E1F19
	v_add_f32_e32 v14, v22, v14                                // 00000000B2EC: 021C1D16
	v_add_f32_e32 v15, v26, v15                                // 00000000B2F0: 021E1F1A
	v_add_f32_e32 v14, v23, v14                                // 00000000B2F4: 021C1D17
	v_add_f32_e32 v15, v27, v15                                // 00000000B2F8: 021E1F1B
	v_mov_b32_e32 v20, 0                                       // 00000000B2FC: 7E280280
	v_cmp_eq_u32_e64 s[38:39], v20, v14                        // 00000000B300: D0CA0026 00021D14
	v_cmp_eq_u32_e64 s[40:41], v20, v15                        // 00000000B308: D0CA0028 00021F14
	v_mul_f32_e64 v20, v12, s64                                // 00000000B310: D1050014 0000810C
	v_mul_f32_e64 v22, v13, s64                                // 00000000B318: D1050016 0000810D
	v_log_f32_e32 v21, v14                                     // 00000000B320: 7E2A430E
	v_log_f32_e32 v23, v15                                     // 00000000B324: 7E2E430F
	v_cndmask_b32_e64 v14, v14, 1.0, s[38:39]                  // 00000000B328: D100000E 0099E50E
	v_cndmask_b32_e64 v15, v15, 1.0, s[40:41]                  // 00000000B330: D100000F 00A1E50F
	s_nop 1                                                    // 00000000B338: BF800001
	v_rcp_f32_e32 v14, v14                                     // 00000000B33C: 7E1C450E
	v_rcp_f32_e32 v15, v15                                     // 00000000B340: 7E1E450F
	s_nop 1                                                    // 00000000B344: BF800001
	v_fma_f32 v24, v21, s63, v20                               // 00000000B348: D1CB0018 04507F15
	v_fma_f32 v25, v23, s63, v22                               // 00000000B350: D1CB0019 04587F17
	v_mul_f32_e32 v56, v14, v56                                // 00000000B358: 0A70710E
	v_mul_f32_e32 v57, v14, v57                                // 00000000B35C: 0A72730E
	v_mul_f32_e32 v58, v14, v58                                // 00000000B360: 0A74750E
	v_mul_f32_e32 v59, v14, v59                                // 00000000B364: 0A76770E
	v_mul_f32_e32 v60, v14, v60                                // 00000000B368: 0A78790E
	v_mul_f32_e32 v61, v14, v61                                // 00000000B36C: 0A7A7B0E
	v_mul_f32_e32 v62, v14, v62                                // 00000000B370: 0A7C7D0E
	v_mul_f32_e32 v63, v14, v63                                // 00000000B374: 0A7E7F0E
	v_mul_f32_e32 v64, v14, v64                                // 00000000B378: 0A80810E
	v_mul_f32_e32 v65, v14, v65                                // 00000000B37C: 0A82830E
	v_mul_f32_e32 v66, v14, v66                                // 00000000B380: 0A84850E
	v_mul_f32_e32 v67, v14, v67                                // 00000000B384: 0A86870E
	v_mul_f32_e32 v68, v14, v68                                // 00000000B388: 0A88890E
	v_mul_f32_e32 v69, v14, v69                                // 00000000B38C: 0A8A8B0E
	v_mul_f32_e32 v70, v14, v70                                // 00000000B390: 0A8C8D0E
	v_mul_f32_e32 v71, v14, v71                                // 00000000B394: 0A8E8F0E
	v_mul_f32_e32 v72, v14, v72                                // 00000000B398: 0A90910E
	v_mul_f32_e32 v73, v14, v73                                // 00000000B39C: 0A92930E
	v_mul_f32_e32 v74, v14, v74                                // 00000000B3A0: 0A94950E
	v_mul_f32_e32 v75, v14, v75                                // 00000000B3A4: 0A96970E
	v_mul_f32_e32 v76, v14, v76                                // 00000000B3A8: 0A98990E
	v_mul_f32_e32 v77, v14, v77                                // 00000000B3AC: 0A9A9B0E
	v_mul_f32_e32 v78, v14, v78                                // 00000000B3B0: 0A9C9D0E
	v_mul_f32_e32 v79, v14, v79                                // 00000000B3B4: 0A9E9F0E
	v_mul_f32_e32 v80, v14, v80                                // 00000000B3B8: 0AA0A10E
	v_mul_f32_e32 v81, v14, v81                                // 00000000B3BC: 0AA2A30E
	v_mul_f32_e32 v82, v14, v82                                // 00000000B3C0: 0AA4A50E
	v_mul_f32_e32 v83, v14, v83                                // 00000000B3C4: 0AA6A70E
	v_mul_f32_e32 v84, v14, v84                                // 00000000B3C8: 0AA8A90E
	v_mul_f32_e32 v85, v14, v85                                // 00000000B3CC: 0AAAAB0E
	v_mul_f32_e32 v86, v14, v86                                // 00000000B3D0: 0AACAD0E
	v_mul_f32_e32 v87, v14, v87                                // 00000000B3D4: 0AAEAF0E
	v_mul_f32_e32 v88, v14, v88                                // 00000000B3D8: 0AB0B10E
	v_mul_f32_e32 v89, v14, v89                                // 00000000B3DC: 0AB2B30E
	v_mul_f32_e32 v90, v14, v90                                // 00000000B3E0: 0AB4B50E
	v_mul_f32_e32 v91, v14, v91                                // 00000000B3E4: 0AB6B70E
	v_mul_f32_e32 v92, v14, v92                                // 00000000B3E8: 0AB8B90E
	v_mul_f32_e32 v93, v14, v93                                // 00000000B3EC: 0ABABB0E
	v_mul_f32_e32 v94, v14, v94                                // 00000000B3F0: 0ABCBD0E
	v_mul_f32_e32 v95, v14, v95                                // 00000000B3F4: 0ABEBF0E
	v_mul_f32_e32 v96, v14, v96                                // 00000000B3F8: 0AC0C10E
	v_mul_f32_e32 v97, v14, v97                                // 00000000B3FC: 0AC2C30E
	v_mul_f32_e32 v98, v14, v98                                // 00000000B400: 0AC4C50E
	v_mul_f32_e32 v99, v14, v99                                // 00000000B404: 0AC6C70E
	v_mul_f32_e32 v100, v14, v100                              // 00000000B408: 0AC8C90E
	v_mul_f32_e32 v101, v14, v101                              // 00000000B40C: 0ACACB0E
	v_mul_f32_e32 v102, v14, v102                              // 00000000B410: 0ACCCD0E
	v_mul_f32_e32 v103, v14, v103                              // 00000000B414: 0ACECF0E
	v_mul_f32_e32 v104, v14, v104                              // 00000000B418: 0AD0D10E
	v_mul_f32_e32 v105, v14, v105                              // 00000000B41C: 0AD2D30E
	v_mul_f32_e32 v106, v14, v106                              // 00000000B420: 0AD4D50E
	v_mul_f32_e32 v107, v14, v107                              // 00000000B424: 0AD6D70E
	v_mul_f32_e32 v108, v14, v108                              // 00000000B428: 0AD8D90E
	v_mul_f32_e32 v109, v14, v109                              // 00000000B42C: 0ADADB0E
	v_mul_f32_e32 v110, v14, v110                              // 00000000B430: 0ADCDD0E
	v_mul_f32_e32 v111, v14, v111                              // 00000000B434: 0ADEDF0E
	v_mul_f32_e32 v112, v14, v112                              // 00000000B438: 0AE0E10E
	v_mul_f32_e32 v113, v14, v113                              // 00000000B43C: 0AE2E30E
	v_mul_f32_e32 v114, v14, v114                              // 00000000B440: 0AE4E50E
	v_mul_f32_e32 v115, v14, v115                              // 00000000B444: 0AE6E70E
	v_mul_f32_e32 v116, v14, v116                              // 00000000B448: 0AE8E90E
	v_mul_f32_e32 v117, v14, v117                              // 00000000B44C: 0AEAEB0E
	v_mul_f32_e32 v118, v14, v118                              // 00000000B450: 0AECED0E
	v_mul_f32_e32 v119, v14, v119                              // 00000000B454: 0AEEEF0E
	v_mul_f32_e32 v120, v14, v120                              // 00000000B458: 0AF0F10E
	v_mul_f32_e32 v121, v14, v121                              // 00000000B45C: 0AF2F30E
	v_mul_f32_e32 v122, v14, v122                              // 00000000B460: 0AF4F50E
	v_mul_f32_e32 v123, v14, v123                              // 00000000B464: 0AF6F70E
	v_mul_f32_e32 v124, v14, v124                              // 00000000B468: 0AF8F90E
	v_mul_f32_e32 v125, v14, v125                              // 00000000B46C: 0AFAFB0E
	v_mul_f32_e32 v126, v14, v126                              // 00000000B470: 0AFCFD0E
	v_mul_f32_e32 v127, v14, v127                              // 00000000B474: 0AFEFF0E
	v_mul_f32_e32 v128, v14, v128                              // 00000000B478: 0B01010E
	v_mul_f32_e32 v129, v14, v129                              // 00000000B47C: 0B03030E
	v_mul_f32_e32 v130, v14, v130                              // 00000000B480: 0B05050E
	v_mul_f32_e32 v131, v14, v131                              // 00000000B484: 0B07070E
	v_mul_f32_e32 v132, v14, v132                              // 00000000B488: 0B09090E
	v_mul_f32_e32 v133, v14, v133                              // 00000000B48C: 0B0B0B0E
	v_mul_f32_e32 v134, v14, v134                              // 00000000B490: 0B0D0D0E
	v_mul_f32_e32 v135, v14, v135                              // 00000000B494: 0B0F0F0E
	v_mul_f32_e32 v136, v14, v136                              // 00000000B498: 0B11110E
	v_mul_f32_e32 v137, v14, v137                              // 00000000B49C: 0B13130E
	v_mul_f32_e32 v138, v14, v138                              // 00000000B4A0: 0B15150E
	v_mul_f32_e32 v139, v14, v139                              // 00000000B4A4: 0B17170E
	v_mul_f32_e32 v140, v14, v140                              // 00000000B4A8: 0B19190E
	v_mul_f32_e32 v141, v14, v141                              // 00000000B4AC: 0B1B1B0E
	v_mul_f32_e32 v142, v14, v142                              // 00000000B4B0: 0B1D1D0E
	v_mul_f32_e32 v143, v14, v143                              // 00000000B4B4: 0B1F1F0E
	v_mul_f32_e32 v144, v14, v144                              // 00000000B4B8: 0B21210E
	v_mul_f32_e32 v145, v14, v145                              // 00000000B4BC: 0B23230E
	v_mul_f32_e32 v146, v14, v146                              // 00000000B4C0: 0B25250E
	v_mul_f32_e32 v147, v14, v147                              // 00000000B4C4: 0B27270E
	v_mul_f32_e32 v148, v14, v148                              // 00000000B4C8: 0B29290E
	v_mul_f32_e32 v149, v14, v149                              // 00000000B4CC: 0B2B2B0E
	v_mul_f32_e32 v150, v14, v150                              // 00000000B4D0: 0B2D2D0E
	v_mul_f32_e32 v151, v14, v151                              // 00000000B4D4: 0B2F2F0E
	v_mul_f32_e32 v152, v14, v152                              // 00000000B4D8: 0B31310E
	v_mul_f32_e32 v153, v14, v153                              // 00000000B4DC: 0B33330E
	v_mul_f32_e32 v154, v14, v154                              // 00000000B4E0: 0B35350E
	v_mul_f32_e32 v155, v14, v155                              // 00000000B4E4: 0B37370E
	v_accvgpr_read_b32 v20, a144                               // 00000000B4E8: D3D84014 18000190
	v_accvgpr_read_b32 v21, a145                               // 00000000B4F0: D3D84015 18000191
	v_mul_f32_e32 v20, v14, v20                                // 00000000B4F8: 0A28290E
	v_mul_f32_e32 v21, v14, v21                                // 00000000B4FC: 0A2A2B0E
	v_accvgpr_write_b32 a144, v20                              // 00000000B500: D3D94090 18000114
	v_accvgpr_write_b32 a145, v21                              // 00000000B508: D3D94091 18000115
	v_accvgpr_read_b32 v20, a146                               // 00000000B510: D3D84014 18000192
	v_accvgpr_read_b32 v21, a147                               // 00000000B518: D3D84015 18000193
	v_mul_f32_e32 v20, v14, v20                                // 00000000B520: 0A28290E
	v_mul_f32_e32 v21, v14, v21                                // 00000000B524: 0A2A2B0E
	v_accvgpr_write_b32 a146, v20                              // 00000000B528: D3D94092 18000114
	v_accvgpr_write_b32 a147, v21                              // 00000000B530: D3D94093 18000115
	v_accvgpr_read_b32 v20, a148                               // 00000000B538: D3D84014 18000194
	v_accvgpr_read_b32 v21, a149                               // 00000000B540: D3D84015 18000195
	v_mul_f32_e32 v20, v14, v20                                // 00000000B548: 0A28290E
	v_mul_f32_e32 v21, v14, v21                                // 00000000B54C: 0A2A2B0E
	v_accvgpr_write_b32 a148, v20                              // 00000000B550: D3D94094 18000114
	v_accvgpr_write_b32 a149, v21                              // 00000000B558: D3D94095 18000115
	v_accvgpr_read_b32 v20, a150                               // 00000000B560: D3D84014 18000196
	v_accvgpr_read_b32 v21, a151                               // 00000000B568: D3D84015 18000197
	v_mul_f32_e32 v20, v14, v20                                // 00000000B570: 0A28290E
	v_mul_f32_e32 v21, v14, v21                                // 00000000B574: 0A2A2B0E
	v_accvgpr_write_b32 a150, v20                              // 00000000B578: D3D94096 18000114
	v_accvgpr_write_b32 a151, v21                              // 00000000B580: D3D94097 18000115
	v_accvgpr_read_b32 v20, a152                               // 00000000B588: D3D84014 18000198
	v_accvgpr_read_b32 v21, a153                               // 00000000B590: D3D84015 18000199
	v_mul_f32_e32 v20, v14, v20                                // 00000000B598: 0A28290E
	v_mul_f32_e32 v21, v14, v21                                // 00000000B59C: 0A2A2B0E
	v_accvgpr_write_b32 a152, v20                              // 00000000B5A0: D3D94098 18000114
	v_accvgpr_write_b32 a153, v21                              // 00000000B5A8: D3D94099 18000115
	v_accvgpr_read_b32 v20, a154                               // 00000000B5B0: D3D84014 1800019A
	v_accvgpr_read_b32 v21, a155                               // 00000000B5B8: D3D84015 1800019B
	v_mul_f32_e32 v20, v14, v20                                // 00000000B5C0: 0A28290E
	v_mul_f32_e32 v21, v14, v21                                // 00000000B5C4: 0A2A2B0E
	v_accvgpr_write_b32 a154, v20                              // 00000000B5C8: D3D9409A 18000114
	v_accvgpr_write_b32 a155, v21                              // 00000000B5D0: D3D9409B 18000115
	v_accvgpr_read_b32 v20, a156                               // 00000000B5D8: D3D84014 1800019C
	v_accvgpr_read_b32 v21, a157                               // 00000000B5E0: D3D84015 1800019D
	v_mul_f32_e32 v20, v14, v20                                // 00000000B5E8: 0A28290E
	v_mul_f32_e32 v21, v14, v21                                // 00000000B5EC: 0A2A2B0E
	v_accvgpr_write_b32 a156, v20                              // 00000000B5F0: D3D9409C 18000114
	v_accvgpr_write_b32 a157, v21                              // 00000000B5F8: D3D9409D 18000115
	v_accvgpr_read_b32 v20, a158                               // 00000000B600: D3D84014 1800019E
	v_accvgpr_read_b32 v21, a159                               // 00000000B608: D3D84015 1800019F
	v_mul_f32_e32 v20, v14, v20                                // 00000000B610: 0A28290E
	v_mul_f32_e32 v21, v14, v21                                // 00000000B614: 0A2A2B0E
	v_accvgpr_write_b32 a158, v20                              // 00000000B618: D3D9409E 18000114
	v_accvgpr_write_b32 a159, v21                              // 00000000B620: D3D9409F 18000115
	v_accvgpr_read_b32 v20, a160                               // 00000000B628: D3D84014 180001A0
	v_accvgpr_read_b32 v21, a161                               // 00000000B630: D3D84015 180001A1
	v_mul_f32_e32 v20, v14, v20                                // 00000000B638: 0A28290E
	v_mul_f32_e32 v21, v14, v21                                // 00000000B63C: 0A2A2B0E
	v_accvgpr_write_b32 a160, v20                              // 00000000B640: D3D940A0 18000114
	v_accvgpr_write_b32 a161, v21                              // 00000000B648: D3D940A1 18000115
	v_accvgpr_read_b32 v20, a162                               // 00000000B650: D3D84014 180001A2
	v_accvgpr_read_b32 v21, a163                               // 00000000B658: D3D84015 180001A3
	v_mul_f32_e32 v20, v14, v20                                // 00000000B660: 0A28290E
	v_mul_f32_e32 v21, v14, v21                                // 00000000B664: 0A2A2B0E
	v_accvgpr_write_b32 a162, v20                              // 00000000B668: D3D940A2 18000114
	v_accvgpr_write_b32 a163, v21                              // 00000000B670: D3D940A3 18000115
	v_accvgpr_read_b32 v20, a164                               // 00000000B678: D3D84014 180001A4
	v_accvgpr_read_b32 v21, a165                               // 00000000B680: D3D84015 180001A5
	v_mul_f32_e32 v20, v14, v20                                // 00000000B688: 0A28290E
	v_mul_f32_e32 v21, v14, v21                                // 00000000B68C: 0A2A2B0E
	v_accvgpr_write_b32 a164, v20                              // 00000000B690: D3D940A4 18000114
	v_accvgpr_write_b32 a165, v21                              // 00000000B698: D3D940A5 18000115
	v_accvgpr_read_b32 v20, a166                               // 00000000B6A0: D3D84014 180001A6
	v_accvgpr_read_b32 v21, a167                               // 00000000B6A8: D3D84015 180001A7
	v_mul_f32_e32 v20, v14, v20                                // 00000000B6B0: 0A28290E
	v_mul_f32_e32 v21, v14, v21                                // 00000000B6B4: 0A2A2B0E
	v_accvgpr_write_b32 a166, v20                              // 00000000B6B8: D3D940A6 18000114
	v_accvgpr_write_b32 a167, v21                              // 00000000B6C0: D3D940A7 18000115
	v_accvgpr_read_b32 v20, a168                               // 00000000B6C8: D3D84014 180001A8
	v_accvgpr_read_b32 v21, a169                               // 00000000B6D0: D3D84015 180001A9
	v_mul_f32_e32 v20, v14, v20                                // 00000000B6D8: 0A28290E
	v_mul_f32_e32 v21, v14, v21                                // 00000000B6DC: 0A2A2B0E
	v_accvgpr_write_b32 a168, v20                              // 00000000B6E0: D3D940A8 18000114
	v_accvgpr_write_b32 a169, v21                              // 00000000B6E8: D3D940A9 18000115
	v_accvgpr_read_b32 v20, a170                               // 00000000B6F0: D3D84014 180001AA
	v_accvgpr_read_b32 v21, a171                               // 00000000B6F8: D3D84015 180001AB
	v_mul_f32_e32 v20, v14, v20                                // 00000000B700: 0A28290E
	v_mul_f32_e32 v21, v14, v21                                // 00000000B704: 0A2A2B0E
	v_accvgpr_write_b32 a170, v20                              // 00000000B708: D3D940AA 18000114
	v_accvgpr_write_b32 a171, v21                              // 00000000B710: D3D940AB 18000115
	v_mul_f32_e32 v156, v15, v156                              // 00000000B718: 0B39390F
	v_mul_f32_e32 v157, v15, v157                              // 00000000B71C: 0B3B3B0F
	v_mul_f32_e32 v158, v15, v158                              // 00000000B720: 0B3D3D0F
	v_mul_f32_e32 v159, v15, v159                              // 00000000B724: 0B3F3F0F
	v_mul_f32_e32 v160, v15, v160                              // 00000000B728: 0B41410F
	v_mul_f32_e32 v161, v15, v161                              // 00000000B72C: 0B43430F
	v_mul_f32_e32 v162, v15, v162                              // 00000000B730: 0B45450F
	v_mul_f32_e32 v163, v15, v163                              // 00000000B734: 0B47470F
	v_mul_f32_e32 v164, v15, v164                              // 00000000B738: 0B49490F
	v_mul_f32_e32 v165, v15, v165                              // 00000000B73C: 0B4B4B0F
	v_mul_f32_e32 v166, v15, v166                              // 00000000B740: 0B4D4D0F
	v_mul_f32_e32 v167, v15, v167                              // 00000000B744: 0B4F4F0F
	v_mul_f32_e32 v168, v15, v168                              // 00000000B748: 0B51510F
	v_mul_f32_e32 v169, v15, v169                              // 00000000B74C: 0B53530F
	v_mul_f32_e32 v170, v15, v170                              // 00000000B750: 0B55550F
	v_mul_f32_e32 v171, v15, v171                              // 00000000B754: 0B57570F
	v_mul_f32_e32 v172, v15, v172                              // 00000000B758: 0B59590F
	v_mul_f32_e32 v173, v15, v173                              // 00000000B75C: 0B5B5B0F
	v_mul_f32_e32 v174, v15, v174                              // 00000000B760: 0B5D5D0F
	v_mul_f32_e32 v175, v15, v175                              // 00000000B764: 0B5F5F0F
	v_mul_f32_e32 v176, v15, v176                              // 00000000B768: 0B61610F
	v_mul_f32_e32 v177, v15, v177                              // 00000000B76C: 0B63630F
	v_mul_f32_e32 v178, v15, v178                              // 00000000B770: 0B65650F
	v_mul_f32_e32 v179, v15, v179                              // 00000000B774: 0B67670F
	v_mul_f32_e32 v180, v15, v180                              // 00000000B778: 0B69690F
	v_mul_f32_e32 v181, v15, v181                              // 00000000B77C: 0B6B6B0F
	v_mul_f32_e32 v182, v15, v182                              // 00000000B780: 0B6D6D0F
	v_mul_f32_e32 v183, v15, v183                              // 00000000B784: 0B6F6F0F
	v_mul_f32_e32 v184, v15, v184                              // 00000000B788: 0B71710F
	v_mul_f32_e32 v185, v15, v185                              // 00000000B78C: 0B73730F
	v_mul_f32_e32 v186, v15, v186                              // 00000000B790: 0B75750F
	v_mul_f32_e32 v187, v15, v187                              // 00000000B794: 0B77770F
	v_mul_f32_e32 v188, v15, v188                              // 00000000B798: 0B79790F
	v_mul_f32_e32 v189, v15, v189                              // 00000000B79C: 0B7B7B0F
	v_mul_f32_e32 v190, v15, v190                              // 00000000B7A0: 0B7D7D0F
	v_mul_f32_e32 v191, v15, v191                              // 00000000B7A4: 0B7F7F0F
	v_mul_f32_e32 v192, v15, v192                              // 00000000B7A8: 0B81810F
	v_mul_f32_e32 v193, v15, v193                              // 00000000B7AC: 0B83830F
	v_mul_f32_e32 v194, v15, v194                              // 00000000B7B0: 0B85850F
	v_mul_f32_e32 v195, v15, v195                              // 00000000B7B4: 0B87870F
	v_mul_f32_e32 v196, v15, v196                              // 00000000B7B8: 0B89890F
	v_mul_f32_e32 v197, v15, v197                              // 00000000B7BC: 0B8B8B0F
	v_mul_f32_e32 v198, v15, v198                              // 00000000B7C0: 0B8D8D0F
	v_mul_f32_e32 v199, v15, v199                              // 00000000B7C4: 0B8F8F0F
	v_mul_f32_e32 v200, v15, v200                              // 00000000B7C8: 0B91910F
	v_mul_f32_e32 v201, v15, v201                              // 00000000B7CC: 0B93930F
	v_mul_f32_e32 v202, v15, v202                              // 00000000B7D0: 0B95950F
	v_mul_f32_e32 v203, v15, v203                              // 00000000B7D4: 0B97970F
	v_mul_f32_e32 v204, v15, v204                              // 00000000B7D8: 0B99990F
	v_mul_f32_e32 v205, v15, v205                              // 00000000B7DC: 0B9B9B0F
	v_mul_f32_e32 v206, v15, v206                              // 00000000B7E0: 0B9D9D0F
	v_mul_f32_e32 v207, v15, v207                              // 00000000B7E4: 0B9F9F0F
	v_mul_f32_e32 v208, v15, v208                              // 00000000B7E8: 0BA1A10F
	v_mul_f32_e32 v209, v15, v209                              // 00000000B7EC: 0BA3A30F
	v_mul_f32_e32 v210, v15, v210                              // 00000000B7F0: 0BA5A50F
	v_mul_f32_e32 v211, v15, v211                              // 00000000B7F4: 0BA7A70F
	v_mul_f32_e32 v212, v15, v212                              // 00000000B7F8: 0BA9A90F
	v_mul_f32_e32 v213, v15, v213                              // 00000000B7FC: 0BABAB0F
	v_mul_f32_e32 v214, v15, v214                              // 00000000B800: 0BADAD0F
	v_mul_f32_e32 v215, v15, v215                              // 00000000B804: 0BAFAF0F
	v_mul_f32_e32 v216, v15, v216                              // 00000000B808: 0BB1B10F
	v_mul_f32_e32 v217, v15, v217                              // 00000000B80C: 0BB3B30F
	v_mul_f32_e32 v218, v15, v218                              // 00000000B810: 0BB5B50F
	v_mul_f32_e32 v219, v15, v219                              // 00000000B814: 0BB7B70F
	v_mul_f32_e32 v220, v15, v220                              // 00000000B818: 0BB9B90F
	v_mul_f32_e32 v221, v15, v221                              // 00000000B81C: 0BBBBB0F
	v_mul_f32_e32 v222, v15, v222                              // 00000000B820: 0BBDBD0F
	v_mul_f32_e32 v223, v15, v223                              // 00000000B824: 0BBFBF0F
	v_mul_f32_e32 v224, v15, v224                              // 00000000B828: 0BC1C10F
	v_mul_f32_e32 v225, v15, v225                              // 00000000B82C: 0BC3C30F
	v_mul_f32_e32 v226, v15, v226                              // 00000000B830: 0BC5C50F
	v_mul_f32_e32 v227, v15, v227                              // 00000000B834: 0BC7C70F
	v_mul_f32_e32 v228, v15, v228                              // 00000000B838: 0BC9C90F
	v_mul_f32_e32 v229, v15, v229                              // 00000000B83C: 0BCBCB0F
	v_mul_f32_e32 v230, v15, v230                              // 00000000B840: 0BCDCD0F
	v_mul_f32_e32 v231, v15, v231                              // 00000000B844: 0BCFCF0F
	v_mul_f32_e32 v232, v15, v232                              // 00000000B848: 0BD1D10F
	v_mul_f32_e32 v233, v15, v233                              // 00000000B84C: 0BD3D30F
	v_mul_f32_e32 v234, v15, v234                              // 00000000B850: 0BD5D50F
	v_mul_f32_e32 v235, v15, v235                              // 00000000B854: 0BD7D70F
	v_mul_f32_e32 v236, v15, v236                              // 00000000B858: 0BD9D90F
	v_mul_f32_e32 v237, v15, v237                              // 00000000B85C: 0BDBDB0F
	v_mul_f32_e32 v238, v15, v238                              // 00000000B860: 0BDDDD0F
	v_mul_f32_e32 v239, v15, v239                              // 00000000B864: 0BDFDF0F
	v_mul_f32_e32 v240, v15, v240                              // 00000000B868: 0BE1E10F
	v_mul_f32_e32 v241, v15, v241                              // 00000000B86C: 0BE3E30F
	v_mul_f32_e32 v242, v15, v242                              // 00000000B870: 0BE5E50F
	v_mul_f32_e32 v243, v15, v243                              // 00000000B874: 0BE7E70F
	v_mul_f32_e32 v244, v15, v244                              // 00000000B878: 0BE9E90F
	v_mul_f32_e32 v245, v15, v245                              // 00000000B87C: 0BEBEB0F
	v_mul_f32_e32 v246, v15, v246                              // 00000000B880: 0BEDED0F
	v_mul_f32_e32 v247, v15, v247                              // 00000000B884: 0BEFEF0F
	v_mul_f32_e32 v248, v15, v248                              // 00000000B888: 0BF1F10F
	v_mul_f32_e32 v249, v15, v249                              // 00000000B88C: 0BF3F30F
	v_mul_f32_e32 v250, v15, v250                              // 00000000B890: 0BF5F50F
	v_mul_f32_e32 v251, v15, v251                              // 00000000B894: 0BF7F70F
	v_mul_f32_e32 v252, v15, v252                              // 00000000B898: 0BF9F90F
	v_mul_f32_e32 v253, v15, v253                              // 00000000B89C: 0BFBFB0F
	v_mul_f32_e32 v254, v15, v254                              // 00000000B8A0: 0BFDFD0F
	v_mul_f32_e32 v255, v15, v255                              // 00000000B8A4: 0BFFFF0F
	v_accvgpr_read_b32 v20, a172                               // 00000000B8A8: D3D84014 180001AC
	v_accvgpr_read_b32 v21, a173                               // 00000000B8B0: D3D84015 180001AD
	v_mul_f32_e32 v20, v15, v20                                // 00000000B8B8: 0A28290F
	v_mul_f32_e32 v21, v15, v21                                // 00000000B8BC: 0A2A2B0F
	v_accvgpr_write_b32 a172, v20                              // 00000000B8C0: D3D940AC 18000114
	v_accvgpr_write_b32 a173, v21                              // 00000000B8C8: D3D940AD 18000115
	v_accvgpr_read_b32 v20, a174                               // 00000000B8D0: D3D84014 180001AE
	v_accvgpr_read_b32 v21, a175                               // 00000000B8D8: D3D84015 180001AF
	v_mul_f32_e32 v20, v15, v20                                // 00000000B8E0: 0A28290F
	v_mul_f32_e32 v21, v15, v21                                // 00000000B8E4: 0A2A2B0F
	v_accvgpr_write_b32 a174, v20                              // 00000000B8E8: D3D940AE 18000114
	v_accvgpr_write_b32 a175, v21                              // 00000000B8F0: D3D940AF 18000115
	v_accvgpr_read_b32 v20, a176                               // 00000000B8F8: D3D84014 180001B0
	v_accvgpr_read_b32 v21, a177                               // 00000000B900: D3D84015 180001B1
	v_mul_f32_e32 v20, v15, v20                                // 00000000B908: 0A28290F
	v_mul_f32_e32 v21, v15, v21                                // 00000000B90C: 0A2A2B0F
	v_accvgpr_write_b32 a176, v20                              // 00000000B910: D3D940B0 18000114
	v_accvgpr_write_b32 a177, v21                              // 00000000B918: D3D940B1 18000115
	v_accvgpr_read_b32 v20, a178                               // 00000000B920: D3D84014 180001B2
	v_accvgpr_read_b32 v21, a179                               // 00000000B928: D3D84015 180001B3
	v_mul_f32_e32 v20, v15, v20                                // 00000000B930: 0A28290F
	v_mul_f32_e32 v21, v15, v21                                // 00000000B934: 0A2A2B0F
	v_accvgpr_write_b32 a178, v20                              // 00000000B938: D3D940B2 18000114
	v_accvgpr_write_b32 a179, v21                              // 00000000B940: D3D940B3 18000115
	v_accvgpr_read_b32 v20, a180                               // 00000000B948: D3D84014 180001B4
	v_accvgpr_read_b32 v21, a181                               // 00000000B950: D3D84015 180001B5
	v_mul_f32_e32 v20, v15, v20                                // 00000000B958: 0A28290F
	v_mul_f32_e32 v21, v15, v21                                // 00000000B95C: 0A2A2B0F
	v_accvgpr_write_b32 a180, v20                              // 00000000B960: D3D940B4 18000114
	v_accvgpr_write_b32 a181, v21                              // 00000000B968: D3D940B5 18000115
	v_accvgpr_read_b32 v20, a182                               // 00000000B970: D3D84014 180001B6
	v_accvgpr_read_b32 v21, a183                               // 00000000B978: D3D84015 180001B7
	v_mul_f32_e32 v20, v15, v20                                // 00000000B980: 0A28290F
	v_mul_f32_e32 v21, v15, v21                                // 00000000B984: 0A2A2B0F
	v_accvgpr_write_b32 a182, v20                              // 00000000B988: D3D940B6 18000114
	v_accvgpr_write_b32 a183, v21                              // 00000000B990: D3D940B7 18000115
	v_accvgpr_read_b32 v20, a184                               // 00000000B998: D3D84014 180001B8
	v_accvgpr_read_b32 v21, a185                               // 00000000B9A0: D3D84015 180001B9
	v_mul_f32_e32 v20, v15, v20                                // 00000000B9A8: 0A28290F
	v_mul_f32_e32 v21, v15, v21                                // 00000000B9AC: 0A2A2B0F
	v_accvgpr_write_b32 a184, v20                              // 00000000B9B0: D3D940B8 18000114
	v_accvgpr_write_b32 a185, v21                              // 00000000B9B8: D3D940B9 18000115
	v_accvgpr_read_b32 v20, a186                               // 00000000B9C0: D3D84014 180001BA
	v_accvgpr_read_b32 v21, a187                               // 00000000B9C8: D3D84015 180001BB
	v_mul_f32_e32 v20, v15, v20                                // 00000000B9D0: 0A28290F
	v_mul_f32_e32 v21, v15, v21                                // 00000000B9D4: 0A2A2B0F
	v_accvgpr_write_b32 a186, v20                              // 00000000B9D8: D3D940BA 18000114
	v_accvgpr_write_b32 a187, v21                              // 00000000B9E0: D3D940BB 18000115
	v_accvgpr_read_b32 v20, a188                               // 00000000B9E8: D3D84014 180001BC
	v_accvgpr_read_b32 v21, a189                               // 00000000B9F0: D3D84015 180001BD
	v_mul_f32_e32 v20, v15, v20                                // 00000000B9F8: 0A28290F
	v_mul_f32_e32 v21, v15, v21                                // 00000000B9FC: 0A2A2B0F
	v_accvgpr_write_b32 a188, v20                              // 00000000BA00: D3D940BC 18000114
	v_accvgpr_write_b32 a189, v21                              // 00000000BA08: D3D940BD 18000115
	v_accvgpr_read_b32 v20, a190                               // 00000000BA10: D3D84014 180001BE
	v_accvgpr_read_b32 v21, a191                               // 00000000BA18: D3D84015 180001BF
	v_mul_f32_e32 v20, v15, v20                                // 00000000BA20: 0A28290F
	v_mul_f32_e32 v21, v15, v21                                // 00000000BA24: 0A2A2B0F
	v_accvgpr_write_b32 a190, v20                              // 00000000BA28: D3D940BE 18000114
	v_accvgpr_write_b32 a191, v21                              // 00000000BA30: D3D940BF 18000115
	v_accvgpr_read_b32 v20, a192                               // 00000000BA38: D3D84014 180001C0
	v_accvgpr_read_b32 v21, a193                               // 00000000BA40: D3D84015 180001C1
	v_mul_f32_e32 v20, v15, v20                                // 00000000BA48: 0A28290F
	v_mul_f32_e32 v21, v15, v21                                // 00000000BA4C: 0A2A2B0F
	v_accvgpr_write_b32 a192, v20                              // 00000000BA50: D3D940C0 18000114
	v_accvgpr_write_b32 a193, v21                              // 00000000BA58: D3D940C1 18000115
	v_accvgpr_read_b32 v20, a194                               // 00000000BA60: D3D84014 180001C2
	v_accvgpr_read_b32 v21, a195                               // 00000000BA68: D3D84015 180001C3
	v_mul_f32_e32 v20, v15, v20                                // 00000000BA70: 0A28290F
	v_mul_f32_e32 v21, v15, v21                                // 00000000BA74: 0A2A2B0F
	v_accvgpr_write_b32 a194, v20                              // 00000000BA78: D3D940C2 18000114
	v_accvgpr_write_b32 a195, v21                              // 00000000BA80: D3D940C3 18000115
	v_accvgpr_read_b32 v20, a196                               // 00000000BA88: D3D84014 180001C4
	v_accvgpr_read_b32 v21, a197                               // 00000000BA90: D3D84015 180001C5
	v_mul_f32_e32 v20, v15, v20                                // 00000000BA98: 0A28290F
	v_mul_f32_e32 v21, v15, v21                                // 00000000BA9C: 0A2A2B0F
	v_accvgpr_write_b32 a196, v20                              // 00000000BAA0: D3D940C4 18000114
	v_accvgpr_write_b32 a197, v21                              // 00000000BAA8: D3D940C5 18000115
	v_accvgpr_read_b32 v20, a198                               // 00000000BAB0: D3D84014 180001C6
	v_accvgpr_read_b32 v21, a199                               // 00000000BAB8: D3D84015 180001C7
	v_mul_f32_e32 v20, v15, v20                                // 00000000BAC0: 0A28290F
	v_mul_f32_e32 v21, v15, v21                                // 00000000BAC4: 0A2A2B0F
	v_accvgpr_write_b32 a198, v20                              // 00000000BAC8: D3D940C6 18000114
	v_accvgpr_write_b32 a199, v21                              // 00000000BAD0: D3D940C7 18000115
	s_cmp_le_u32 s67, 1                                        // 00000000BAD8: BF0B8143
	s_cbranch_scc0 label_30F6                                  // 00000000BADC: BF840AFE
	s_mul_i32 s75, 0x400, s65                                  // 00000000BAE0: 924B41FF 00000400
	s_mul_i32 s76, s67, s75                                    // 00000000BAE8: 924C4B43
	s_add_u32 s56, s80, s79                                    // 00000000BAEC: 80384F50
	v_mov_b32_e32 v20, s56                                     // 00000000BAF0: 7E280238
	v_mul_lo_u32 v21, s76, v20                                 // 00000000BAF4: D2850015 0002284C
	v_mul_hi_u32 v22, s76, v20                                 // 00000000BAFC: D2860016 0002284C
	s_nop 2                                                    // 00000000BB04: BF800002
	v_readfirstlane_b32 s56, v21                               // 00000000BB08: 7E700515
	v_readfirstlane_b32 s57, v22                               // 00000000BB0C: 7E720516
	s_nop 4                                                    // 00000000BB10: BF800004
	s_add_u32 s8, s56, s8                                      // 00000000BB14: 80080838
	s_addc_u32 s9, s57, s9                                     // 00000000BB18: 82090939
	s_sub_u32 s56, s81, s80                                    // 00000000BB1C: 80B85051
	s_mul_i32 s56, s56, s76                                    // 00000000BB20: 92384C38
	s_mov_b32 s10, s56                                         // 00000000BB24: BE8A0038
	v_and_b32_e32 v20, 7, v0                                   // 00000000BB28: 26280087
	v_lshlrev_b32_e32 v18, 4, v20                              // 00000000BB2C: 24242884
	v_lshrrev_b32_e32 v20, 3, v0                               // 00000000BB30: 20280083
	v_mul_i32_i24_e32 v20, 0x400, v20                          // 00000000BB34: 0C2828FF 00000400
	v_add_u32_e32 v18, v18, v20                                // 00000000BB3C: 68242912
	s_mul_i32 s56, s4, s75                                     // 00000000BB40: 92384B04
	v_add_u32_e64 v18, v18, s56                                // 00000000BB44: D1340012 00007112
	s_mul_i32 s56, s7, 0x4000                                  // 00000000BB4C: 9238FF07 00004000
	v_add_u32_e64 v18, v18, s56                                // 00000000BB54: D1340012 00007112
	v_mov_b32_e32 v19, v18                                     // 00000000BB5C: 7E260312
	s_waitcnt vmcnt(0) lgkmcnt(0)                              // 00000000BB60: BF8C0070
	s_barrier                                                  // 00000000BB64: BF8A0000
	s_mul_i32 s75, 0x400, s65                                  // 00000000BB68: 924B41FF 00000400
	s_mul_i32 s76, s67, s75                                    // 00000000BB70: 924C4B43
	v_lshrrev_b32_e32 v20, 4, v0                               // 00000000BB74: 20280084
	v_mul_i32_i24_e32 v5, 0x48, v20                            // 00000000BB78: 0C0A28FF 00000048
	v_and_b32_e32 v20, 15, v0                                  // 00000000BB80: 2628008F
	v_mul_i32_i24_e32 v20, 2, v20                              // 00000000BB84: 0C282882
	v_add_u32_e32 v5, v20, v5                                  // 00000000BB88: 680A0B14
	s_mul_i32 s56, s7, 0x480                                   // 00000000BB8C: 9238FF07 00000480
	v_add_u32_e32 v5, s56, v5                                  // 00000000BB94: 680A0A38
	v_lshlrev_b32_e32 v5, 2, v5                                // 00000000BB98: 240A0A82
	v_lshrrev_b32_e32 v20, 3, v0                               // 00000000BB9C: 20280083
	v_mul_i32_i24_e32 v4, 2, v20                               // 00000000BBA0: 0C082882
	v_and_b32_e32 v20, 7, v0                                   // 00000000BBA4: 26280087
	v_mul_i32_i24_e32 v20, 36, v20                             // 00000000BBA8: 0C2828A4
	v_add_u32_e32 v4, v20, v4                                  // 00000000BBAC: 68080914
	s_mul_i32 s56, s7, 0x480                                   // 00000000BBB0: 9238FF07 00000480
	v_add_u32_e32 v4, s56, v4                                  // 00000000BBB8: 68080838
	v_lshlrev_b32_e32 v4, 2, v4                                // 00000000BBBC: 24080882
	v_mov_b32_e32 v29, 0xffff0000                              // 00000000BBC0: 7E3A02FF FFFF0000
	v_mov_b32_e32 v30, 0x7fff0000                              // 00000000BBC8: 7E3C02FF 7FFF0000
	v_mov_b32_e32 v31, 0x7fff                                  // 00000000BBD0: 7E3E02FF 00007FFF
	s_mov_b32 s56, 0                                           // 00000000BBD8: BEB80080
	v_add_u32_e64 v19, v19, s56                                // 00000000BBDC: D1340013 00007113
	v_mov_b32_e32 v24, v56                                     // 00000000BBE4: 7E300338
	v_mov_b32_e32 v25, v60                                     // 00000000BBE8: 7E32033C
	v_mov_b32_e32 v26, v64                                     // 00000000BBEC: 7E340340
	v_mov_b32_e32 v27, v68                                     // 00000000BBF0: 7E360344
	v_mul_f32_e32 v24, s43, v24                                // 00000000BBF4: 0A30302B
	v_mul_f32_e32 v25, s43, v25                                // 00000000BBF8: 0A32322B
	v_mul_f32_e32 v26, s43, v26                                // 00000000BBFC: 0A34342B
	v_mul_f32_e32 v27, s43, v27                                // 00000000BC00: 0A36362B
	v_cmp_u_f32_e64 s[38:39], v24, v24                         // 00000000BC04: D0480026 00023118
	v_add3_u32 v28, v24, v31, 1                                // 00000000BC0C: D1FF001C 02063F18
	v_cndmask_b32_e64 v20, v28, v30, s[38:39]                  // 00000000BC14: D1000014 009A3D1C
	v_cmp_u_f32_e64 s[38:39], v25, v25                         // 00000000BC1C: D0480026 00023319
	v_add3_u32 v28, v25, v31, 1                                // 00000000BC24: D1FF001C 02063F19
	v_cndmask_b32_e64 v21, v28, v30, s[38:39]                  // 00000000BC2C: D1000015 009A3D1C
	v_perm_b32 v24, v21, v20, s51                              // 00000000BC34: D1ED0018 00CE2915
	v_cmp_u_f32_e64 s[38:39], v26, v26                         // 00000000BC3C: D0480026 0002351A
	v_add3_u32 v28, v26, v31, 1                                // 00000000BC44: D1FF001C 02063F1A
	v_cndmask_b32_e64 v20, v28, v30, s[38:39]                  // 00000000BC4C: D1000014 009A3D1C
	v_cmp_u_f32_e64 s[38:39], v27, v27                         // 00000000BC54: D0480026 0002371B
	v_add3_u32 v28, v27, v31, 1                                // 00000000BC5C: D1FF001C 02063F1B
	v_cndmask_b32_e64 v21, v28, v30, s[38:39]                  // 00000000BC64: D1000015 009A3D1C
	v_perm_b32 v25, v21, v20, s51                              // 00000000BC6C: D1ED0019 00CE2915
	ds_write_b64 v5, v[24:25]                                  // 00000000BC74: D89A0000 00001805
	v_mov_b32_e32 v24, v57                                     // 00000000BC7C: 7E300339
	v_mov_b32_e32 v25, v61                                     // 00000000BC80: 7E32033D
	v_mov_b32_e32 v26, v65                                     // 00000000BC84: 7E340341
	v_mov_b32_e32 v27, v69                                     // 00000000BC88: 7E360345
	v_mul_f32_e32 v24, s43, v24                                // 00000000BC8C: 0A30302B
	v_mul_f32_e32 v25, s43, v25                                // 00000000BC90: 0A32322B
	v_mul_f32_e32 v26, s43, v26                                // 00000000BC94: 0A34342B
	v_mul_f32_e32 v27, s43, v27                                // 00000000BC98: 0A36362B
	v_cmp_u_f32_e64 s[38:39], v24, v24                         // 00000000BC9C: D0480026 00023118
	v_add3_u32 v28, v24, v31, 1                                // 00000000BCA4: D1FF001C 02063F18
	v_cndmask_b32_e64 v20, v28, v30, s[38:39]                  // 00000000BCAC: D1000014 009A3D1C
	v_cmp_u_f32_e64 s[38:39], v25, v25                         // 00000000BCB4: D0480026 00023319
	v_add3_u32 v28, v25, v31, 1                                // 00000000BCBC: D1FF001C 02063F19
	v_cndmask_b32_e64 v21, v28, v30, s[38:39]                  // 00000000BCC4: D1000015 009A3D1C
	v_perm_b32 v24, v21, v20, s51                              // 00000000BCCC: D1ED0018 00CE2915
	v_cmp_u_f32_e64 s[38:39], v26, v26                         // 00000000BCD4: D0480026 0002351A
	v_add3_u32 v28, v26, v31, 1                                // 00000000BCDC: D1FF001C 02063F1A
	v_cndmask_b32_e64 v20, v28, v30, s[38:39]                  // 00000000BCE4: D1000014 009A3D1C
	v_cmp_u_f32_e64 s[38:39], v27, v27                         // 00000000BCEC: D0480026 0002371B
	v_add3_u32 v28, v27, v31, 1                                // 00000000BCF4: D1FF001C 02063F1B
	v_cndmask_b32_e64 v21, v28, v30, s[38:39]                  // 00000000BCFC: D1000015 009A3D1C
	v_perm_b32 v25, v21, v20, s51                              // 00000000BD04: D1ED0019 00CE2915
	ds_write_b64 v5, v[24:25] offset:1152                      // 00000000BD0C: D89A0480 00001805
	v_mov_b32_e32 v24, v58                                     // 00000000BD14: 7E30033A
	v_mov_b32_e32 v25, v62                                     // 00000000BD18: 7E32033E
	v_mov_b32_e32 v26, v66                                     // 00000000BD1C: 7E340342
	v_mov_b32_e32 v27, v70                                     // 00000000BD20: 7E360346
	v_mul_f32_e32 v24, s43, v24                                // 00000000BD24: 0A30302B
	v_mul_f32_e32 v25, s43, v25                                // 00000000BD28: 0A32322B
	v_mul_f32_e32 v26, s43, v26                                // 00000000BD2C: 0A34342B
	v_mul_f32_e32 v27, s43, v27                                // 00000000BD30: 0A36362B
	v_cmp_u_f32_e64 s[38:39], v24, v24                         // 00000000BD34: D0480026 00023118
	v_add3_u32 v28, v24, v31, 1                                // 00000000BD3C: D1FF001C 02063F18
	v_cndmask_b32_e64 v20, v28, v30, s[38:39]                  // 00000000BD44: D1000014 009A3D1C
	v_cmp_u_f32_e64 s[38:39], v25, v25                         // 00000000BD4C: D0480026 00023319
	v_add3_u32 v28, v25, v31, 1                                // 00000000BD54: D1FF001C 02063F19
	v_cndmask_b32_e64 v21, v28, v30, s[38:39]                  // 00000000BD5C: D1000015 009A3D1C
	v_perm_b32 v24, v21, v20, s51                              // 00000000BD64: D1ED0018 00CE2915
	v_cmp_u_f32_e64 s[38:39], v26, v26                         // 00000000BD6C: D0480026 0002351A
	v_add3_u32 v28, v26, v31, 1                                // 00000000BD74: D1FF001C 02063F1A
	v_cndmask_b32_e64 v20, v28, v30, s[38:39]                  // 00000000BD7C: D1000014 009A3D1C
	v_cmp_u_f32_e64 s[38:39], v27, v27                         // 00000000BD84: D0480026 0002371B
	v_add3_u32 v28, v27, v31, 1                                // 00000000BD8C: D1FF001C 02063F1B
	v_cndmask_b32_e64 v21, v28, v30, s[38:39]                  // 00000000BD94: D1000015 009A3D1C
	v_perm_b32 v25, v21, v20, s51                              // 00000000BD9C: D1ED0019 00CE2915
	ds_write_b64 v5, v[24:25] offset:144                       // 00000000BDA4: D89A0090 00001805
	v_mov_b32_e32 v24, v59                                     // 00000000BDAC: 7E30033B
	v_mov_b32_e32 v25, v63                                     // 00000000BDB0: 7E32033F
	v_mov_b32_e32 v26, v67                                     // 00000000BDB4: 7E340343
	v_mov_b32_e32 v27, v71                                     // 00000000BDB8: 7E360347
	v_mul_f32_e32 v24, s43, v24                                // 00000000BDBC: 0A30302B
	v_mul_f32_e32 v25, s43, v25                                // 00000000BDC0: 0A32322B
	v_mul_f32_e32 v26, s43, v26                                // 00000000BDC4: 0A34342B
	v_mul_f32_e32 v27, s43, v27                                // 00000000BDC8: 0A36362B
	v_cmp_u_f32_e64 s[38:39], v24, v24                         // 00000000BDCC: D0480026 00023118
	v_add3_u32 v28, v24, v31, 1                                // 00000000BDD4: D1FF001C 02063F18
	v_cndmask_b32_e64 v20, v28, v30, s[38:39]                  // 00000000BDDC: D1000014 009A3D1C
	v_cmp_u_f32_e64 s[38:39], v25, v25                         // 00000000BDE4: D0480026 00023319
	v_add3_u32 v28, v25, v31, 1                                // 00000000BDEC: D1FF001C 02063F19
	v_cndmask_b32_e64 v21, v28, v30, s[38:39]                  // 00000000BDF4: D1000015 009A3D1C
	v_perm_b32 v24, v21, v20, s51                              // 00000000BDFC: D1ED0018 00CE2915
	v_cmp_u_f32_e64 s[38:39], v26, v26                         // 00000000BE04: D0480026 0002351A
	v_add3_u32 v28, v26, v31, 1                                // 00000000BE0C: D1FF001C 02063F1A
	v_cndmask_b32_e64 v20, v28, v30, s[38:39]                  // 00000000BE14: D1000014 009A3D1C
	v_cmp_u_f32_e64 s[38:39], v27, v27                         // 00000000BE1C: D0480026 0002371B
	v_add3_u32 v28, v27, v31, 1                                // 00000000BE24: D1FF001C 02063F1B
	v_cndmask_b32_e64 v21, v28, v30, s[38:39]                  // 00000000BE2C: D1000015 009A3D1C
	v_perm_b32 v25, v21, v20, s51                              // 00000000BE34: D1ED0019 00CE2915
	ds_write_b64 v5, v[24:25] offset:1296                      // 00000000BE3C: D89A0510 00001805
	v_mov_b32_e32 v24, v72                                     // 00000000BE44: 7E300348
	v_mov_b32_e32 v25, v76                                     // 00000000BE48: 7E32034C
	v_mov_b32_e32 v26, v80                                     // 00000000BE4C: 7E340350
	v_mov_b32_e32 v27, v84                                     // 00000000BE50: 7E360354
	v_mul_f32_e32 v24, s43, v24                                // 00000000BE54: 0A30302B
	v_mul_f32_e32 v25, s43, v25                                // 00000000BE58: 0A32322B
	v_mul_f32_e32 v26, s43, v26                                // 00000000BE5C: 0A34342B
	v_mul_f32_e32 v27, s43, v27                                // 00000000BE60: 0A36362B
	v_cmp_u_f32_e64 s[38:39], v24, v24                         // 00000000BE64: D0480026 00023118
	v_add3_u32 v28, v24, v31, 1                                // 00000000BE6C: D1FF001C 02063F18
	v_cndmask_b32_e64 v20, v28, v30, s[38:39]                  // 00000000BE74: D1000014 009A3D1C
	v_cmp_u_f32_e64 s[38:39], v25, v25                         // 00000000BE7C: D0480026 00023319
	v_add3_u32 v28, v25, v31, 1                                // 00000000BE84: D1FF001C 02063F19
	v_cndmask_b32_e64 v21, v28, v30, s[38:39]                  // 00000000BE8C: D1000015 009A3D1C
	v_perm_b32 v24, v21, v20, s51                              // 00000000BE94: D1ED0018 00CE2915
	v_cmp_u_f32_e64 s[38:39], v26, v26                         // 00000000BE9C: D0480026 0002351A
	v_add3_u32 v28, v26, v31, 1                                // 00000000BEA4: D1FF001C 02063F1A
	v_cndmask_b32_e64 v20, v28, v30, s[38:39]                  // 00000000BEAC: D1000014 009A3D1C
	v_cmp_u_f32_e64 s[38:39], v27, v27                         // 00000000BEB4: D0480026 0002371B
	v_add3_u32 v28, v27, v31, 1                                // 00000000BEBC: D1FF001C 02063F1B
	v_cndmask_b32_e64 v21, v28, v30, s[38:39]                  // 00000000BEC4: D1000015 009A3D1C
	v_perm_b32 v25, v21, v20, s51                              // 00000000BECC: D1ED0019 00CE2915
	ds_write_b64 v5, v[24:25] offset:2304                      // 00000000BED4: D89A0900 00001805
	v_mov_b32_e32 v24, v73                                     // 00000000BEDC: 7E300349
	v_mov_b32_e32 v25, v77                                     // 00000000BEE0: 7E32034D
	v_mov_b32_e32 v26, v81                                     // 00000000BEE4: 7E340351
	v_mov_b32_e32 v27, v85                                     // 00000000BEE8: 7E360355
	v_mul_f32_e32 v24, s43, v24                                // 00000000BEEC: 0A30302B
	v_mul_f32_e32 v25, s43, v25                                // 00000000BEF0: 0A32322B
	v_mul_f32_e32 v26, s43, v26                                // 00000000BEF4: 0A34342B
	v_mul_f32_e32 v27, s43, v27                                // 00000000BEF8: 0A36362B
	v_cmp_u_f32_e64 s[38:39], v24, v24                         // 00000000BEFC: D0480026 00023118
	v_add3_u32 v28, v24, v31, 1                                // 00000000BF04: D1FF001C 02063F18
	v_cndmask_b32_e64 v20, v28, v30, s[38:39]                  // 00000000BF0C: D1000014 009A3D1C
	v_cmp_u_f32_e64 s[38:39], v25, v25                         // 00000000BF14: D0480026 00023319
	v_add3_u32 v28, v25, v31, 1                                // 00000000BF1C: D1FF001C 02063F19
	v_cndmask_b32_e64 v21, v28, v30, s[38:39]                  // 00000000BF24: D1000015 009A3D1C
	v_perm_b32 v24, v21, v20, s51                              // 00000000BF2C: D1ED0018 00CE2915
	v_cmp_u_f32_e64 s[38:39], v26, v26                         // 00000000BF34: D0480026 0002351A
	v_add3_u32 v28, v26, v31, 1                                // 00000000BF3C: D1FF001C 02063F1A
	v_cndmask_b32_e64 v20, v28, v30, s[38:39]                  // 00000000BF44: D1000014 009A3D1C
	v_cmp_u_f32_e64 s[38:39], v27, v27                         // 00000000BF4C: D0480026 0002371B
	v_add3_u32 v28, v27, v31, 1                                // 00000000BF54: D1FF001C 02063F1B
	v_cndmask_b32_e64 v21, v28, v30, s[38:39]                  // 00000000BF5C: D1000015 009A3D1C
	v_perm_b32 v25, v21, v20, s51                              // 00000000BF64: D1ED0019 00CE2915
	ds_write_b64 v5, v[24:25] offset:3456                      // 00000000BF6C: D89A0D80 00001805
	v_mov_b32_e32 v24, v74                                     // 00000000BF74: 7E30034A
	v_mov_b32_e32 v25, v78                                     // 00000000BF78: 7E32034E
	v_mov_b32_e32 v26, v82                                     // 00000000BF7C: 7E340352
	v_mov_b32_e32 v27, v86                                     // 00000000BF80: 7E360356
	v_mul_f32_e32 v24, s43, v24                                // 00000000BF84: 0A30302B
	v_mul_f32_e32 v25, s43, v25                                // 00000000BF88: 0A32322B
	v_mul_f32_e32 v26, s43, v26                                // 00000000BF8C: 0A34342B
	v_mul_f32_e32 v27, s43, v27                                // 00000000BF90: 0A36362B
	v_cmp_u_f32_e64 s[38:39], v24, v24                         // 00000000BF94: D0480026 00023118
	v_add3_u32 v28, v24, v31, 1                                // 00000000BF9C: D1FF001C 02063F18
	v_cndmask_b32_e64 v20, v28, v30, s[38:39]                  // 00000000BFA4: D1000014 009A3D1C
	v_cmp_u_f32_e64 s[38:39], v25, v25                         // 00000000BFAC: D0480026 00023319
	v_add3_u32 v28, v25, v31, 1                                // 00000000BFB4: D1FF001C 02063F19
	v_cndmask_b32_e64 v21, v28, v30, s[38:39]                  // 00000000BFBC: D1000015 009A3D1C
	v_perm_b32 v24, v21, v20, s51                              // 00000000BFC4: D1ED0018 00CE2915
	v_cmp_u_f32_e64 s[38:39], v26, v26                         // 00000000BFCC: D0480026 0002351A
	v_add3_u32 v28, v26, v31, 1                                // 00000000BFD4: D1FF001C 02063F1A
	v_cndmask_b32_e64 v20, v28, v30, s[38:39]                  // 00000000BFDC: D1000014 009A3D1C
	v_cmp_u_f32_e64 s[38:39], v27, v27                         // 00000000BFE4: D0480026 0002371B
	v_add3_u32 v28, v27, v31, 1                                // 00000000BFEC: D1FF001C 02063F1B
	v_cndmask_b32_e64 v21, v28, v30, s[38:39]                  // 00000000BFF4: D1000015 009A3D1C
	v_perm_b32 v25, v21, v20, s51                              // 00000000BFFC: D1ED0019 00CE2915
	ds_write_b64 v5, v[24:25] offset:2448                      // 00000000C004: D89A0990 00001805
	v_mov_b32_e32 v24, v75                                     // 00000000C00C: 7E30034B
	v_mov_b32_e32 v25, v79                                     // 00000000C010: 7E32034F
	v_mov_b32_e32 v26, v83                                     // 00000000C014: 7E340353
	v_mov_b32_e32 v27, v87                                     // 00000000C018: 7E360357
	v_mul_f32_e32 v24, s43, v24                                // 00000000C01C: 0A30302B
	v_mul_f32_e32 v25, s43, v25                                // 00000000C020: 0A32322B
	v_mul_f32_e32 v26, s43, v26                                // 00000000C024: 0A34342B
	v_mul_f32_e32 v27, s43, v27                                // 00000000C028: 0A36362B
	v_cmp_u_f32_e64 s[38:39], v24, v24                         // 00000000C02C: D0480026 00023118
	v_add3_u32 v28, v24, v31, 1                                // 00000000C034: D1FF001C 02063F18
	v_cndmask_b32_e64 v20, v28, v30, s[38:39]                  // 00000000C03C: D1000014 009A3D1C
	v_cmp_u_f32_e64 s[38:39], v25, v25                         // 00000000C044: D0480026 00023319
	v_add3_u32 v28, v25, v31, 1                                // 00000000C04C: D1FF001C 02063F19
	v_cndmask_b32_e64 v21, v28, v30, s[38:39]                  // 00000000C054: D1000015 009A3D1C
	v_perm_b32 v24, v21, v20, s51                              // 00000000C05C: D1ED0018 00CE2915
	v_cmp_u_f32_e64 s[38:39], v26, v26                         // 00000000C064: D0480026 0002351A
	v_add3_u32 v28, v26, v31, 1                                // 00000000C06C: D1FF001C 02063F1A
	v_cndmask_b32_e64 v20, v28, v30, s[38:39]                  // 00000000C074: D1000014 009A3D1C
	v_cmp_u_f32_e64 s[38:39], v27, v27                         // 00000000C07C: D0480026 0002371B
	v_add3_u32 v28, v27, v31, 1                                // 00000000C084: D1FF001C 02063F1B
	v_cndmask_b32_e64 v21, v28, v30, s[38:39]                  // 00000000C08C: D1000015 009A3D1C
	v_perm_b32 v25, v21, v20, s51                              // 00000000C094: D1ED0019 00CE2915
	ds_write_b64 v5, v[24:25] offset:3600                      // 00000000C09C: D89A0E10 00001805
	s_waitcnt lgkmcnt(4)                                       // 00000000C0A4: BF8CC47F
	ds_read_b64 v[56:57], v4                                   // 00000000C0A8: D8EC0000 38000004
	ds_read_b64 v[60:61], v4 offset:64                         // 00000000C0B0: D8EC0040 3C000004
	ds_read_b64 v[58:59], v4 offset:1152                       // 00000000C0B8: D8EC0480 3A000004
	ds_read_b64 v[62:63], v4 offset:1216                       // 00000000C0C0: D8EC04C0 3E000004
	s_waitcnt lgkmcnt(4)                                       // 00000000C0C8: BF8CC47F
	ds_read_b64 v[64:65], v4 offset:2304                       // 00000000C0CC: D8EC0900 40000004
	ds_read_b64 v[68:69], v4 offset:2368                       // 00000000C0D4: D8EC0940 44000004
	ds_read_b64 v[66:67], v4 offset:3456                       // 00000000C0DC: D8EC0D80 42000004
	ds_read_b64 v[70:71], v4 offset:3520                       // 00000000C0E4: D8EC0DC0 46000004
	s_waitcnt lgkmcnt(0)                                       // 00000000C0EC: BF8CC07F
	v_mov_b32_e32 v18, v19                                     // 00000000C0F0: 7E240313
	buffer_store_dwordx4 v[56:59], v18, s[8:11], 0 offen       // 00000000C0F4: E07C1000 80023812
	buffer_store_dwordx4 v[64:67], v18, s[8:11], 0 offen offset:128// 00000000C0FC: E07C1080 80024012
	v_add_u32_e32 v18, 0x2000, v18                             // 00000000C104: 682424FF 00002000
	buffer_store_dwordx4 v[60:63], v18, s[8:11], 0 offen       // 00000000C10C: E07C1000 80023C12
	buffer_store_dwordx4 v[68:71], v18, s[8:11], 0 offen offset:128// 00000000C114: E07C1080 80024412
	v_add_u32_e32 v18, 0x2000, v18                             // 00000000C11C: 682424FF 00002000
	v_mov_b32_e32 v24, v88                                     // 00000000C124: 7E300358
	v_mov_b32_e32 v25, v92                                     // 00000000C128: 7E32035C
	v_mov_b32_e32 v26, v96                                     // 00000000C12C: 7E340360
	v_mov_b32_e32 v27, v100                                    // 00000000C130: 7E360364
	v_mul_f32_e32 v24, s43, v24                                // 00000000C134: 0A30302B
	v_mul_f32_e32 v25, s43, v25                                // 00000000C138: 0A32322B
	v_mul_f32_e32 v26, s43, v26                                // 00000000C13C: 0A34342B
	v_mul_f32_e32 v27, s43, v27                                // 00000000C140: 0A36362B
	v_cmp_u_f32_e64 s[38:39], v24, v24                         // 00000000C144: D0480026 00023118
	v_add3_u32 v28, v24, v31, 1                                // 00000000C14C: D1FF001C 02063F18
	v_cndmask_b32_e64 v20, v28, v30, s[38:39]                  // 00000000C154: D1000014 009A3D1C
	v_cmp_u_f32_e64 s[38:39], v25, v25                         // 00000000C15C: D0480026 00023319
	v_add3_u32 v28, v25, v31, 1                                // 00000000C164: D1FF001C 02063F19
	v_cndmask_b32_e64 v21, v28, v30, s[38:39]                  // 00000000C16C: D1000015 009A3D1C
	v_perm_b32 v24, v21, v20, s51                              // 00000000C174: D1ED0018 00CE2915
	v_cmp_u_f32_e64 s[38:39], v26, v26                         // 00000000C17C: D0480026 0002351A
	v_add3_u32 v28, v26, v31, 1                                // 00000000C184: D1FF001C 02063F1A
	v_cndmask_b32_e64 v20, v28, v30, s[38:39]                  // 00000000C18C: D1000014 009A3D1C
	v_cmp_u_f32_e64 s[38:39], v27, v27                         // 00000000C194: D0480026 0002371B
	v_add3_u32 v28, v27, v31, 1                                // 00000000C19C: D1FF001C 02063F1B
	v_cndmask_b32_e64 v21, v28, v30, s[38:39]                  // 00000000C1A4: D1000015 009A3D1C
	v_perm_b32 v25, v21, v20, s51                              // 00000000C1AC: D1ED0019 00CE2915
	ds_write_b64 v5, v[24:25]                                  // 00000000C1B4: D89A0000 00001805
	v_mov_b32_e32 v24, v89                                     // 00000000C1BC: 7E300359
	v_mov_b32_e32 v25, v93                                     // 00000000C1C0: 7E32035D
	v_mov_b32_e32 v26, v97                                     // 00000000C1C4: 7E340361
	v_mov_b32_e32 v27, v101                                    // 00000000C1C8: 7E360365
	v_mul_f32_e32 v24, s43, v24                                // 00000000C1CC: 0A30302B
	v_mul_f32_e32 v25, s43, v25                                // 00000000C1D0: 0A32322B
	v_mul_f32_e32 v26, s43, v26                                // 00000000C1D4: 0A34342B
	v_mul_f32_e32 v27, s43, v27                                // 00000000C1D8: 0A36362B
	v_cmp_u_f32_e64 s[38:39], v24, v24                         // 00000000C1DC: D0480026 00023118
	v_add3_u32 v28, v24, v31, 1                                // 00000000C1E4: D1FF001C 02063F18
	v_cndmask_b32_e64 v20, v28, v30, s[38:39]                  // 00000000C1EC: D1000014 009A3D1C
	v_cmp_u_f32_e64 s[38:39], v25, v25                         // 00000000C1F4: D0480026 00023319
	v_add3_u32 v28, v25, v31, 1                                // 00000000C1FC: D1FF001C 02063F19
	v_cndmask_b32_e64 v21, v28, v30, s[38:39]                  // 00000000C204: D1000015 009A3D1C
	v_perm_b32 v24, v21, v20, s51                              // 00000000C20C: D1ED0018 00CE2915
	v_cmp_u_f32_e64 s[38:39], v26, v26                         // 00000000C214: D0480026 0002351A
	v_add3_u32 v28, v26, v31, 1                                // 00000000C21C: D1FF001C 02063F1A
	v_cndmask_b32_e64 v20, v28, v30, s[38:39]                  // 00000000C224: D1000014 009A3D1C
	v_cmp_u_f32_e64 s[38:39], v27, v27                         // 00000000C22C: D0480026 0002371B
	v_add3_u32 v28, v27, v31, 1                                // 00000000C234: D1FF001C 02063F1B
	v_cndmask_b32_e64 v21, v28, v30, s[38:39]                  // 00000000C23C: D1000015 009A3D1C
	v_perm_b32 v25, v21, v20, s51                              // 00000000C244: D1ED0019 00CE2915
	ds_write_b64 v5, v[24:25] offset:1152                      // 00000000C24C: D89A0480 00001805
	v_mov_b32_e32 v24, v90                                     // 00000000C254: 7E30035A
	v_mov_b32_e32 v25, v94                                     // 00000000C258: 7E32035E
	v_mov_b32_e32 v26, v98                                     // 00000000C25C: 7E340362
	v_mov_b32_e32 v27, v102                                    // 00000000C260: 7E360366
	v_mul_f32_e32 v24, s43, v24                                // 00000000C264: 0A30302B
	v_mul_f32_e32 v25, s43, v25                                // 00000000C268: 0A32322B
	v_mul_f32_e32 v26, s43, v26                                // 00000000C26C: 0A34342B
	v_mul_f32_e32 v27, s43, v27                                // 00000000C270: 0A36362B
	v_cmp_u_f32_e64 s[38:39], v24, v24                         // 00000000C274: D0480026 00023118
	v_add3_u32 v28, v24, v31, 1                                // 00000000C27C: D1FF001C 02063F18
	v_cndmask_b32_e64 v20, v28, v30, s[38:39]                  // 00000000C284: D1000014 009A3D1C
	v_cmp_u_f32_e64 s[38:39], v25, v25                         // 00000000C28C: D0480026 00023319
	v_add3_u32 v28, v25, v31, 1                                // 00000000C294: D1FF001C 02063F19
	v_cndmask_b32_e64 v21, v28, v30, s[38:39]                  // 00000000C29C: D1000015 009A3D1C
	v_perm_b32 v24, v21, v20, s51                              // 00000000C2A4: D1ED0018 00CE2915
	v_cmp_u_f32_e64 s[38:39], v26, v26                         // 00000000C2AC: D0480026 0002351A
	v_add3_u32 v28, v26, v31, 1                                // 00000000C2B4: D1FF001C 02063F1A
	v_cndmask_b32_e64 v20, v28, v30, s[38:39]                  // 00000000C2BC: D1000014 009A3D1C
	v_cmp_u_f32_e64 s[38:39], v27, v27                         // 00000000C2C4: D0480026 0002371B
	v_add3_u32 v28, v27, v31, 1                                // 00000000C2CC: D1FF001C 02063F1B
	v_cndmask_b32_e64 v21, v28, v30, s[38:39]                  // 00000000C2D4: D1000015 009A3D1C
	v_perm_b32 v25, v21, v20, s51                              // 00000000C2DC: D1ED0019 00CE2915
	ds_write_b64 v5, v[24:25] offset:144                       // 00000000C2E4: D89A0090 00001805
	v_mov_b32_e32 v24, v91                                     // 00000000C2EC: 7E30035B
	v_mov_b32_e32 v25, v95                                     // 00000000C2F0: 7E32035F
	v_mov_b32_e32 v26, v99                                     // 00000000C2F4: 7E340363
	v_mov_b32_e32 v27, v103                                    // 00000000C2F8: 7E360367
	v_mul_f32_e32 v24, s43, v24                                // 00000000C2FC: 0A30302B
	v_mul_f32_e32 v25, s43, v25                                // 00000000C300: 0A32322B
	v_mul_f32_e32 v26, s43, v26                                // 00000000C304: 0A34342B
	v_mul_f32_e32 v27, s43, v27                                // 00000000C308: 0A36362B
	v_cmp_u_f32_e64 s[38:39], v24, v24                         // 00000000C30C: D0480026 00023118
	v_add3_u32 v28, v24, v31, 1                                // 00000000C314: D1FF001C 02063F18
	v_cndmask_b32_e64 v20, v28, v30, s[38:39]                  // 00000000C31C: D1000014 009A3D1C
	v_cmp_u_f32_e64 s[38:39], v25, v25                         // 00000000C324: D0480026 00023319
	v_add3_u32 v28, v25, v31, 1                                // 00000000C32C: D1FF001C 02063F19
	v_cndmask_b32_e64 v21, v28, v30, s[38:39]                  // 00000000C334: D1000015 009A3D1C
	v_perm_b32 v24, v21, v20, s51                              // 00000000C33C: D1ED0018 00CE2915
	v_cmp_u_f32_e64 s[38:39], v26, v26                         // 00000000C344: D0480026 0002351A
	v_add3_u32 v28, v26, v31, 1                                // 00000000C34C: D1FF001C 02063F1A
	v_cndmask_b32_e64 v20, v28, v30, s[38:39]                  // 00000000C354: D1000014 009A3D1C
	v_cmp_u_f32_e64 s[38:39], v27, v27                         // 00000000C35C: D0480026 0002371B
	v_add3_u32 v28, v27, v31, 1                                // 00000000C364: D1FF001C 02063F1B
	v_cndmask_b32_e64 v21, v28, v30, s[38:39]                  // 00000000C36C: D1000015 009A3D1C
	v_perm_b32 v25, v21, v20, s51                              // 00000000C374: D1ED0019 00CE2915
	ds_write_b64 v5, v[24:25] offset:1296                      // 00000000C37C: D89A0510 00001805
	v_mov_b32_e32 v24, v104                                    // 00000000C384: 7E300368
	v_mov_b32_e32 v25, v108                                    // 00000000C388: 7E32036C
	v_mov_b32_e32 v26, v112                                    // 00000000C38C: 7E340370
	v_mov_b32_e32 v27, v116                                    // 00000000C390: 7E360374
	v_mul_f32_e32 v24, s43, v24                                // 00000000C394: 0A30302B
	v_mul_f32_e32 v25, s43, v25                                // 00000000C398: 0A32322B
	v_mul_f32_e32 v26, s43, v26                                // 00000000C39C: 0A34342B
	v_mul_f32_e32 v27, s43, v27                                // 00000000C3A0: 0A36362B
	v_cmp_u_f32_e64 s[38:39], v24, v24                         // 00000000C3A4: D0480026 00023118
	v_add3_u32 v28, v24, v31, 1                                // 00000000C3AC: D1FF001C 02063F18
	v_cndmask_b32_e64 v20, v28, v30, s[38:39]                  // 00000000C3B4: D1000014 009A3D1C
	v_cmp_u_f32_e64 s[38:39], v25, v25                         // 00000000C3BC: D0480026 00023319
	v_add3_u32 v28, v25, v31, 1                                // 00000000C3C4: D1FF001C 02063F19
	v_cndmask_b32_e64 v21, v28, v30, s[38:39]                  // 00000000C3CC: D1000015 009A3D1C
	v_perm_b32 v24, v21, v20, s51                              // 00000000C3D4: D1ED0018 00CE2915
	v_cmp_u_f32_e64 s[38:39], v26, v26                         // 00000000C3DC: D0480026 0002351A
	v_add3_u32 v28, v26, v31, 1                                // 00000000C3E4: D1FF001C 02063F1A
	v_cndmask_b32_e64 v20, v28, v30, s[38:39]                  // 00000000C3EC: D1000014 009A3D1C
	v_cmp_u_f32_e64 s[38:39], v27, v27                         // 00000000C3F4: D0480026 0002371B
	v_add3_u32 v28, v27, v31, 1                                // 00000000C3FC: D1FF001C 02063F1B
	v_cndmask_b32_e64 v21, v28, v30, s[38:39]                  // 00000000C404: D1000015 009A3D1C
	v_perm_b32 v25, v21, v20, s51                              // 00000000C40C: D1ED0019 00CE2915
	ds_write_b64 v5, v[24:25] offset:2304                      // 00000000C414: D89A0900 00001805
	v_mov_b32_e32 v24, v105                                    // 00000000C41C: 7E300369
	v_mov_b32_e32 v25, v109                                    // 00000000C420: 7E32036D
	v_mov_b32_e32 v26, v113                                    // 00000000C424: 7E340371
	v_mov_b32_e32 v27, v117                                    // 00000000C428: 7E360375
	v_mul_f32_e32 v24, s43, v24                                // 00000000C42C: 0A30302B
	v_mul_f32_e32 v25, s43, v25                                // 00000000C430: 0A32322B
	v_mul_f32_e32 v26, s43, v26                                // 00000000C434: 0A34342B
	v_mul_f32_e32 v27, s43, v27                                // 00000000C438: 0A36362B
	v_cmp_u_f32_e64 s[38:39], v24, v24                         // 00000000C43C: D0480026 00023118
	v_add3_u32 v28, v24, v31, 1                                // 00000000C444: D1FF001C 02063F18
	v_cndmask_b32_e64 v20, v28, v30, s[38:39]                  // 00000000C44C: D1000014 009A3D1C
	v_cmp_u_f32_e64 s[38:39], v25, v25                         // 00000000C454: D0480026 00023319
	v_add3_u32 v28, v25, v31, 1                                // 00000000C45C: D1FF001C 02063F19
	v_cndmask_b32_e64 v21, v28, v30, s[38:39]                  // 00000000C464: D1000015 009A3D1C
	v_perm_b32 v24, v21, v20, s51                              // 00000000C46C: D1ED0018 00CE2915
	v_cmp_u_f32_e64 s[38:39], v26, v26                         // 00000000C474: D0480026 0002351A
	v_add3_u32 v28, v26, v31, 1                                // 00000000C47C: D1FF001C 02063F1A
	v_cndmask_b32_e64 v20, v28, v30, s[38:39]                  // 00000000C484: D1000014 009A3D1C
	v_cmp_u_f32_e64 s[38:39], v27, v27                         // 00000000C48C: D0480026 0002371B
	v_add3_u32 v28, v27, v31, 1                                // 00000000C494: D1FF001C 02063F1B
	v_cndmask_b32_e64 v21, v28, v30, s[38:39]                  // 00000000C49C: D1000015 009A3D1C
	v_perm_b32 v25, v21, v20, s51                              // 00000000C4A4: D1ED0019 00CE2915
	ds_write_b64 v5, v[24:25] offset:3456                      // 00000000C4AC: D89A0D80 00001805
	v_mov_b32_e32 v24, v106                                    // 00000000C4B4: 7E30036A
	v_mov_b32_e32 v25, v110                                    // 00000000C4B8: 7E32036E
	v_mov_b32_e32 v26, v114                                    // 00000000C4BC: 7E340372
	v_mov_b32_e32 v27, v118                                    // 00000000C4C0: 7E360376
	v_mul_f32_e32 v24, s43, v24                                // 00000000C4C4: 0A30302B
	v_mul_f32_e32 v25, s43, v25                                // 00000000C4C8: 0A32322B
	v_mul_f32_e32 v26, s43, v26                                // 00000000C4CC: 0A34342B
	v_mul_f32_e32 v27, s43, v27                                // 00000000C4D0: 0A36362B
	v_cmp_u_f32_e64 s[38:39], v24, v24                         // 00000000C4D4: D0480026 00023118
	v_add3_u32 v28, v24, v31, 1                                // 00000000C4DC: D1FF001C 02063F18
	v_cndmask_b32_e64 v20, v28, v30, s[38:39]                  // 00000000C4E4: D1000014 009A3D1C
	v_cmp_u_f32_e64 s[38:39], v25, v25                         // 00000000C4EC: D0480026 00023319
	v_add3_u32 v28, v25, v31, 1                                // 00000000C4F4: D1FF001C 02063F19
	v_cndmask_b32_e64 v21, v28, v30, s[38:39]                  // 00000000C4FC: D1000015 009A3D1C
	v_perm_b32 v24, v21, v20, s51                              // 00000000C504: D1ED0018 00CE2915
	v_cmp_u_f32_e64 s[38:39], v26, v26                         // 00000000C50C: D0480026 0002351A
	v_add3_u32 v28, v26, v31, 1                                // 00000000C514: D1FF001C 02063F1A
	v_cndmask_b32_e64 v20, v28, v30, s[38:39]                  // 00000000C51C: D1000014 009A3D1C
	v_cmp_u_f32_e64 s[38:39], v27, v27                         // 00000000C524: D0480026 0002371B
	v_add3_u32 v28, v27, v31, 1                                // 00000000C52C: D1FF001C 02063F1B
	v_cndmask_b32_e64 v21, v28, v30, s[38:39]                  // 00000000C534: D1000015 009A3D1C
	v_perm_b32 v25, v21, v20, s51                              // 00000000C53C: D1ED0019 00CE2915
	ds_write_b64 v5, v[24:25] offset:2448                      // 00000000C544: D89A0990 00001805
	v_mov_b32_e32 v24, v107                                    // 00000000C54C: 7E30036B
	v_mov_b32_e32 v25, v111                                    // 00000000C550: 7E32036F
	v_mov_b32_e32 v26, v115                                    // 00000000C554: 7E340373
	v_mov_b32_e32 v27, v119                                    // 00000000C558: 7E360377
	v_mul_f32_e32 v24, s43, v24                                // 00000000C55C: 0A30302B
	v_mul_f32_e32 v25, s43, v25                                // 00000000C560: 0A32322B
	v_mul_f32_e32 v26, s43, v26                                // 00000000C564: 0A34342B
	v_mul_f32_e32 v27, s43, v27                                // 00000000C568: 0A36362B
	v_cmp_u_f32_e64 s[38:39], v24, v24                         // 00000000C56C: D0480026 00023118
	v_add3_u32 v28, v24, v31, 1                                // 00000000C574: D1FF001C 02063F18
	v_cndmask_b32_e64 v20, v28, v30, s[38:39]                  // 00000000C57C: D1000014 009A3D1C
	v_cmp_u_f32_e64 s[38:39], v25, v25                         // 00000000C584: D0480026 00023319
	v_add3_u32 v28, v25, v31, 1                                // 00000000C58C: D1FF001C 02063F19
	v_cndmask_b32_e64 v21, v28, v30, s[38:39]                  // 00000000C594: D1000015 009A3D1C
	v_perm_b32 v24, v21, v20, s51                              // 00000000C59C: D1ED0018 00CE2915
	v_cmp_u_f32_e64 s[38:39], v26, v26                         // 00000000C5A4: D0480026 0002351A
	v_add3_u32 v28, v26, v31, 1                                // 00000000C5AC: D1FF001C 02063F1A
	v_cndmask_b32_e64 v20, v28, v30, s[38:39]                  // 00000000C5B4: D1000014 009A3D1C
	v_cmp_u_f32_e64 s[38:39], v27, v27                         // 00000000C5BC: D0480026 0002371B
	v_add3_u32 v28, v27, v31, 1                                // 00000000C5C4: D1FF001C 02063F1B
	v_cndmask_b32_e64 v21, v28, v30, s[38:39]                  // 00000000C5CC: D1000015 009A3D1C
	v_perm_b32 v25, v21, v20, s51                              // 00000000C5D4: D1ED0019 00CE2915
	ds_write_b64 v5, v[24:25] offset:3600                      // 00000000C5DC: D89A0E10 00001805
	s_waitcnt lgkmcnt(4)                                       // 00000000C5E4: BF8CC47F
	ds_read_b64 v[56:57], v4                                   // 00000000C5E8: D8EC0000 38000004
	ds_read_b64 v[60:61], v4 offset:64                         // 00000000C5F0: D8EC0040 3C000004
	ds_read_b64 v[58:59], v4 offset:1152                       // 00000000C5F8: D8EC0480 3A000004
	ds_read_b64 v[62:63], v4 offset:1216                       // 00000000C600: D8EC04C0 3E000004
	s_waitcnt lgkmcnt(4)                                       // 00000000C608: BF8CC47F
	ds_read_b64 v[64:65], v4 offset:2304                       // 00000000C60C: D8EC0900 40000004
	ds_read_b64 v[68:69], v4 offset:2368                       // 00000000C614: D8EC0940 44000004
	ds_read_b64 v[66:67], v4 offset:3456                       // 00000000C61C: D8EC0D80 42000004
	ds_read_b64 v[70:71], v4 offset:3520                       // 00000000C624: D8EC0DC0 46000004
	s_waitcnt lgkmcnt(0)                                       // 00000000C62C: BF8CC07F
	v_mov_b32_e32 v18, v19                                     // 00000000C630: 7E240313
	buffer_store_dwordx4 v[56:59], v18, s[8:11], 0 offen offset:256// 00000000C634: E07C1100 80023812
	buffer_store_dwordx4 v[64:67], v18, s[8:11], 0 offen offset:384// 00000000C63C: E07C1180 80024012
	v_add_u32_e32 v18, 0x2000, v18                             // 00000000C644: 682424FF 00002000
	buffer_store_dwordx4 v[60:63], v18, s[8:11], 0 offen offset:256// 00000000C64C: E07C1100 80023C12
	buffer_store_dwordx4 v[68:71], v18, s[8:11], 0 offen offset:384// 00000000C654: E07C1180 80024412
	v_add_u32_e32 v18, 0x2000, v18                             // 00000000C65C: 682424FF 00002000
	v_mov_b32_e32 v24, v120                                    // 00000000C664: 7E300378
	v_mov_b32_e32 v25, v124                                    // 00000000C668: 7E32037C
	v_mov_b32_e32 v26, v128                                    // 00000000C66C: 7E340380
	v_mov_b32_e32 v27, v132                                    // 00000000C670: 7E360384
	v_mul_f32_e32 v24, s43, v24                                // 00000000C674: 0A30302B
	v_mul_f32_e32 v25, s43, v25                                // 00000000C678: 0A32322B
	v_mul_f32_e32 v26, s43, v26                                // 00000000C67C: 0A34342B
	v_mul_f32_e32 v27, s43, v27                                // 00000000C680: 0A36362B
	v_cmp_u_f32_e64 s[38:39], v24, v24                         // 00000000C684: D0480026 00023118
	v_add3_u32 v28, v24, v31, 1                                // 00000000C68C: D1FF001C 02063F18
	v_cndmask_b32_e64 v20, v28, v30, s[38:39]                  // 00000000C694: D1000014 009A3D1C
	v_cmp_u_f32_e64 s[38:39], v25, v25                         // 00000000C69C: D0480026 00023319
	v_add3_u32 v28, v25, v31, 1                                // 00000000C6A4: D1FF001C 02063F19
	v_cndmask_b32_e64 v21, v28, v30, s[38:39]                  // 00000000C6AC: D1000015 009A3D1C
	v_perm_b32 v24, v21, v20, s51                              // 00000000C6B4: D1ED0018 00CE2915
	v_cmp_u_f32_e64 s[38:39], v26, v26                         // 00000000C6BC: D0480026 0002351A
	v_add3_u32 v28, v26, v31, 1                                // 00000000C6C4: D1FF001C 02063F1A
	v_cndmask_b32_e64 v20, v28, v30, s[38:39]                  // 00000000C6CC: D1000014 009A3D1C
	v_cmp_u_f32_e64 s[38:39], v27, v27                         // 00000000C6D4: D0480026 0002371B
	v_add3_u32 v28, v27, v31, 1                                // 00000000C6DC: D1FF001C 02063F1B
	v_cndmask_b32_e64 v21, v28, v30, s[38:39]                  // 00000000C6E4: D1000015 009A3D1C
	v_perm_b32 v25, v21, v20, s51                              // 00000000C6EC: D1ED0019 00CE2915
	ds_write_b64 v5, v[24:25]                                  // 00000000C6F4: D89A0000 00001805
	v_mov_b32_e32 v24, v121                                    // 00000000C6FC: 7E300379
	v_mov_b32_e32 v25, v125                                    // 00000000C700: 7E32037D
	v_mov_b32_e32 v26, v129                                    // 00000000C704: 7E340381
	v_mov_b32_e32 v27, v133                                    // 00000000C708: 7E360385
	v_mul_f32_e32 v24, s43, v24                                // 00000000C70C: 0A30302B
	v_mul_f32_e32 v25, s43, v25                                // 00000000C710: 0A32322B
	v_mul_f32_e32 v26, s43, v26                                // 00000000C714: 0A34342B
	v_mul_f32_e32 v27, s43, v27                                // 00000000C718: 0A36362B
	v_cmp_u_f32_e64 s[38:39], v24, v24                         // 00000000C71C: D0480026 00023118
	v_add3_u32 v28, v24, v31, 1                                // 00000000C724: D1FF001C 02063F18
	v_cndmask_b32_e64 v20, v28, v30, s[38:39]                  // 00000000C72C: D1000014 009A3D1C
	v_cmp_u_f32_e64 s[38:39], v25, v25                         // 00000000C734: D0480026 00023319
	v_add3_u32 v28, v25, v31, 1                                // 00000000C73C: D1FF001C 02063F19
	v_cndmask_b32_e64 v21, v28, v30, s[38:39]                  // 00000000C744: D1000015 009A3D1C
	v_perm_b32 v24, v21, v20, s51                              // 00000000C74C: D1ED0018 00CE2915
	v_cmp_u_f32_e64 s[38:39], v26, v26                         // 00000000C754: D0480026 0002351A
	v_add3_u32 v28, v26, v31, 1                                // 00000000C75C: D1FF001C 02063F1A
	v_cndmask_b32_e64 v20, v28, v30, s[38:39]                  // 00000000C764: D1000014 009A3D1C
	v_cmp_u_f32_e64 s[38:39], v27, v27                         // 00000000C76C: D0480026 0002371B
	v_add3_u32 v28, v27, v31, 1                                // 00000000C774: D1FF001C 02063F1B
	v_cndmask_b32_e64 v21, v28, v30, s[38:39]                  // 00000000C77C: D1000015 009A3D1C
	v_perm_b32 v25, v21, v20, s51                              // 00000000C784: D1ED0019 00CE2915
	ds_write_b64 v5, v[24:25] offset:1152                      // 00000000C78C: D89A0480 00001805
	v_mov_b32_e32 v24, v122                                    // 00000000C794: 7E30037A
	v_mov_b32_e32 v25, v126                                    // 00000000C798: 7E32037E
	v_mov_b32_e32 v26, v130                                    // 00000000C79C: 7E340382
	v_mov_b32_e32 v27, v134                                    // 00000000C7A0: 7E360386
	v_mul_f32_e32 v24, s43, v24                                // 00000000C7A4: 0A30302B
	v_mul_f32_e32 v25, s43, v25                                // 00000000C7A8: 0A32322B
	v_mul_f32_e32 v26, s43, v26                                // 00000000C7AC: 0A34342B
	v_mul_f32_e32 v27, s43, v27                                // 00000000C7B0: 0A36362B
	v_cmp_u_f32_e64 s[38:39], v24, v24                         // 00000000C7B4: D0480026 00023118
	v_add3_u32 v28, v24, v31, 1                                // 00000000C7BC: D1FF001C 02063F18
	v_cndmask_b32_e64 v20, v28, v30, s[38:39]                  // 00000000C7C4: D1000014 009A3D1C
	v_cmp_u_f32_e64 s[38:39], v25, v25                         // 00000000C7CC: D0480026 00023319
	v_add3_u32 v28, v25, v31, 1                                // 00000000C7D4: D1FF001C 02063F19
	v_cndmask_b32_e64 v21, v28, v30, s[38:39]                  // 00000000C7DC: D1000015 009A3D1C
	v_perm_b32 v24, v21, v20, s51                              // 00000000C7E4: D1ED0018 00CE2915
	v_cmp_u_f32_e64 s[38:39], v26, v26                         // 00000000C7EC: D0480026 0002351A
	v_add3_u32 v28, v26, v31, 1                                // 00000000C7F4: D1FF001C 02063F1A
	v_cndmask_b32_e64 v20, v28, v30, s[38:39]                  // 00000000C7FC: D1000014 009A3D1C
	v_cmp_u_f32_e64 s[38:39], v27, v27                         // 00000000C804: D0480026 0002371B
	v_add3_u32 v28, v27, v31, 1                                // 00000000C80C: D1FF001C 02063F1B
	v_cndmask_b32_e64 v21, v28, v30, s[38:39]                  // 00000000C814: D1000015 009A3D1C
	v_perm_b32 v25, v21, v20, s51                              // 00000000C81C: D1ED0019 00CE2915
	ds_write_b64 v5, v[24:25] offset:144                       // 00000000C824: D89A0090 00001805
	v_mov_b32_e32 v24, v123                                    // 00000000C82C: 7E30037B
	v_mov_b32_e32 v25, v127                                    // 00000000C830: 7E32037F
	v_mov_b32_e32 v26, v131                                    // 00000000C834: 7E340383
	v_mov_b32_e32 v27, v135                                    // 00000000C838: 7E360387
	v_mul_f32_e32 v24, s43, v24                                // 00000000C83C: 0A30302B
	v_mul_f32_e32 v25, s43, v25                                // 00000000C840: 0A32322B
	v_mul_f32_e32 v26, s43, v26                                // 00000000C844: 0A34342B
	v_mul_f32_e32 v27, s43, v27                                // 00000000C848: 0A36362B
	v_cmp_u_f32_e64 s[38:39], v24, v24                         // 00000000C84C: D0480026 00023118
	v_add3_u32 v28, v24, v31, 1                                // 00000000C854: D1FF001C 02063F18
	v_cndmask_b32_e64 v20, v28, v30, s[38:39]                  // 00000000C85C: D1000014 009A3D1C
	v_cmp_u_f32_e64 s[38:39], v25, v25                         // 00000000C864: D0480026 00023319
	v_add3_u32 v28, v25, v31, 1                                // 00000000C86C: D1FF001C 02063F19
	v_cndmask_b32_e64 v21, v28, v30, s[38:39]                  // 00000000C874: D1000015 009A3D1C
	v_perm_b32 v24, v21, v20, s51                              // 00000000C87C: D1ED0018 00CE2915
	v_cmp_u_f32_e64 s[38:39], v26, v26                         // 00000000C884: D0480026 0002351A
	v_add3_u32 v28, v26, v31, 1                                // 00000000C88C: D1FF001C 02063F1A
	v_cndmask_b32_e64 v20, v28, v30, s[38:39]                  // 00000000C894: D1000014 009A3D1C
	v_cmp_u_f32_e64 s[38:39], v27, v27                         // 00000000C89C: D0480026 0002371B
	v_add3_u32 v28, v27, v31, 1                                // 00000000C8A4: D1FF001C 02063F1B
	v_cndmask_b32_e64 v21, v28, v30, s[38:39]                  // 00000000C8AC: D1000015 009A3D1C
	v_perm_b32 v25, v21, v20, s51                              // 00000000C8B4: D1ED0019 00CE2915
	ds_write_b64 v5, v[24:25] offset:1296                      // 00000000C8BC: D89A0510 00001805
	v_mov_b32_e32 v24, v136                                    // 00000000C8C4: 7E300388
	v_mov_b32_e32 v25, v140                                    // 00000000C8C8: 7E32038C
	v_mov_b32_e32 v26, v144                                    // 00000000C8CC: 7E340390
	v_mov_b32_e32 v27, v148                                    // 00000000C8D0: 7E360394
	v_mul_f32_e32 v24, s43, v24                                // 00000000C8D4: 0A30302B
	v_mul_f32_e32 v25, s43, v25                                // 00000000C8D8: 0A32322B
	v_mul_f32_e32 v26, s43, v26                                // 00000000C8DC: 0A34342B
	v_mul_f32_e32 v27, s43, v27                                // 00000000C8E0: 0A36362B
	v_cmp_u_f32_e64 s[38:39], v24, v24                         // 00000000C8E4: D0480026 00023118
	v_add3_u32 v28, v24, v31, 1                                // 00000000C8EC: D1FF001C 02063F18
	v_cndmask_b32_e64 v20, v28, v30, s[38:39]                  // 00000000C8F4: D1000014 009A3D1C
	v_cmp_u_f32_e64 s[38:39], v25, v25                         // 00000000C8FC: D0480026 00023319
	v_add3_u32 v28, v25, v31, 1                                // 00000000C904: D1FF001C 02063F19
	v_cndmask_b32_e64 v21, v28, v30, s[38:39]                  // 00000000C90C: D1000015 009A3D1C
	v_perm_b32 v24, v21, v20, s51                              // 00000000C914: D1ED0018 00CE2915
	v_cmp_u_f32_e64 s[38:39], v26, v26                         // 00000000C91C: D0480026 0002351A
	v_add3_u32 v28, v26, v31, 1                                // 00000000C924: D1FF001C 02063F1A
	v_cndmask_b32_e64 v20, v28, v30, s[38:39]                  // 00000000C92C: D1000014 009A3D1C
	v_cmp_u_f32_e64 s[38:39], v27, v27                         // 00000000C934: D0480026 0002371B
	v_add3_u32 v28, v27, v31, 1                                // 00000000C93C: D1FF001C 02063F1B
	v_cndmask_b32_e64 v21, v28, v30, s[38:39]                  // 00000000C944: D1000015 009A3D1C
	v_perm_b32 v25, v21, v20, s51                              // 00000000C94C: D1ED0019 00CE2915
	ds_write_b64 v5, v[24:25] offset:2304                      // 00000000C954: D89A0900 00001805
	v_mov_b32_e32 v24, v137                                    // 00000000C95C: 7E300389
	v_mov_b32_e32 v25, v141                                    // 00000000C960: 7E32038D
	v_mov_b32_e32 v26, v145                                    // 00000000C964: 7E340391
	v_mov_b32_e32 v27, v149                                    // 00000000C968: 7E360395
	v_mul_f32_e32 v24, s43, v24                                // 00000000C96C: 0A30302B
	v_mul_f32_e32 v25, s43, v25                                // 00000000C970: 0A32322B
	v_mul_f32_e32 v26, s43, v26                                // 00000000C974: 0A34342B
	v_mul_f32_e32 v27, s43, v27                                // 00000000C978: 0A36362B
	v_cmp_u_f32_e64 s[38:39], v24, v24                         // 00000000C97C: D0480026 00023118
	v_add3_u32 v28, v24, v31, 1                                // 00000000C984: D1FF001C 02063F18
	v_cndmask_b32_e64 v20, v28, v30, s[38:39]                  // 00000000C98C: D1000014 009A3D1C
	v_cmp_u_f32_e64 s[38:39], v25, v25                         // 00000000C994: D0480026 00023319
	v_add3_u32 v28, v25, v31, 1                                // 00000000C99C: D1FF001C 02063F19
	v_cndmask_b32_e64 v21, v28, v30, s[38:39]                  // 00000000C9A4: D1000015 009A3D1C
	v_perm_b32 v24, v21, v20, s51                              // 00000000C9AC: D1ED0018 00CE2915
	v_cmp_u_f32_e64 s[38:39], v26, v26                         // 00000000C9B4: D0480026 0002351A
	v_add3_u32 v28, v26, v31, 1                                // 00000000C9BC: D1FF001C 02063F1A
	v_cndmask_b32_e64 v20, v28, v30, s[38:39]                  // 00000000C9C4: D1000014 009A3D1C
	v_cmp_u_f32_e64 s[38:39], v27, v27                         // 00000000C9CC: D0480026 0002371B
	v_add3_u32 v28, v27, v31, 1                                // 00000000C9D4: D1FF001C 02063F1B
	v_cndmask_b32_e64 v21, v28, v30, s[38:39]                  // 00000000C9DC: D1000015 009A3D1C
	v_perm_b32 v25, v21, v20, s51                              // 00000000C9E4: D1ED0019 00CE2915
	ds_write_b64 v5, v[24:25] offset:3456                      // 00000000C9EC: D89A0D80 00001805
	v_mov_b32_e32 v24, v138                                    // 00000000C9F4: 7E30038A
	v_mov_b32_e32 v25, v142                                    // 00000000C9F8: 7E32038E
	v_mov_b32_e32 v26, v146                                    // 00000000C9FC: 7E340392
	v_mov_b32_e32 v27, v150                                    // 00000000CA00: 7E360396
	v_mul_f32_e32 v24, s43, v24                                // 00000000CA04: 0A30302B
	v_mul_f32_e32 v25, s43, v25                                // 00000000CA08: 0A32322B
	v_mul_f32_e32 v26, s43, v26                                // 00000000CA0C: 0A34342B
	v_mul_f32_e32 v27, s43, v27                                // 00000000CA10: 0A36362B
	v_cmp_u_f32_e64 s[38:39], v24, v24                         // 00000000CA14: D0480026 00023118
	v_add3_u32 v28, v24, v31, 1                                // 00000000CA1C: D1FF001C 02063F18
	v_cndmask_b32_e64 v20, v28, v30, s[38:39]                  // 00000000CA24: D1000014 009A3D1C
	v_cmp_u_f32_e64 s[38:39], v25, v25                         // 00000000CA2C: D0480026 00023319
	v_add3_u32 v28, v25, v31, 1                                // 00000000CA34: D1FF001C 02063F19
	v_cndmask_b32_e64 v21, v28, v30, s[38:39]                  // 00000000CA3C: D1000015 009A3D1C
	v_perm_b32 v24, v21, v20, s51                              // 00000000CA44: D1ED0018 00CE2915
	v_cmp_u_f32_e64 s[38:39], v26, v26                         // 00000000CA4C: D0480026 0002351A
	v_add3_u32 v28, v26, v31, 1                                // 00000000CA54: D1FF001C 02063F1A
	v_cndmask_b32_e64 v20, v28, v30, s[38:39]                  // 00000000CA5C: D1000014 009A3D1C
	v_cmp_u_f32_e64 s[38:39], v27, v27                         // 00000000CA64: D0480026 0002371B
	v_add3_u32 v28, v27, v31, 1                                // 00000000CA6C: D1FF001C 02063F1B
	v_cndmask_b32_e64 v21, v28, v30, s[38:39]                  // 00000000CA74: D1000015 009A3D1C
	v_perm_b32 v25, v21, v20, s51                              // 00000000CA7C: D1ED0019 00CE2915
	ds_write_b64 v5, v[24:25] offset:2448                      // 00000000CA84: D89A0990 00001805
	v_mov_b32_e32 v24, v139                                    // 00000000CA8C: 7E30038B
	v_mov_b32_e32 v25, v143                                    // 00000000CA90: 7E32038F
	v_mov_b32_e32 v26, v147                                    // 00000000CA94: 7E340393
	v_mov_b32_e32 v27, v151                                    // 00000000CA98: 7E360397
	v_mul_f32_e32 v24, s43, v24                                // 00000000CA9C: 0A30302B
	v_mul_f32_e32 v25, s43, v25                                // 00000000CAA0: 0A32322B
	v_mul_f32_e32 v26, s43, v26                                // 00000000CAA4: 0A34342B
	v_mul_f32_e32 v27, s43, v27                                // 00000000CAA8: 0A36362B
	v_cmp_u_f32_e64 s[38:39], v24, v24                         // 00000000CAAC: D0480026 00023118
	v_add3_u32 v28, v24, v31, 1                                // 00000000CAB4: D1FF001C 02063F18
	v_cndmask_b32_e64 v20, v28, v30, s[38:39]                  // 00000000CABC: D1000014 009A3D1C
	v_cmp_u_f32_e64 s[38:39], v25, v25                         // 00000000CAC4: D0480026 00023319
	v_add3_u32 v28, v25, v31, 1                                // 00000000CACC: D1FF001C 02063F19
	v_cndmask_b32_e64 v21, v28, v30, s[38:39]                  // 00000000CAD4: D1000015 009A3D1C
	v_perm_b32 v24, v21, v20, s51                              // 00000000CADC: D1ED0018 00CE2915
	v_cmp_u_f32_e64 s[38:39], v26, v26                         // 00000000CAE4: D0480026 0002351A
	v_add3_u32 v28, v26, v31, 1                                // 00000000CAEC: D1FF001C 02063F1A
	v_cndmask_b32_e64 v20, v28, v30, s[38:39]                  // 00000000CAF4: D1000014 009A3D1C
	v_cmp_u_f32_e64 s[38:39], v27, v27                         // 00000000CAFC: D0480026 0002371B
	v_add3_u32 v28, v27, v31, 1                                // 00000000CB04: D1FF001C 02063F1B
	v_cndmask_b32_e64 v21, v28, v30, s[38:39]                  // 00000000CB0C: D1000015 009A3D1C
	v_perm_b32 v25, v21, v20, s51                              // 00000000CB14: D1ED0019 00CE2915
	ds_write_b64 v5, v[24:25] offset:3600                      // 00000000CB1C: D89A0E10 00001805
	s_waitcnt lgkmcnt(4)                                       // 00000000CB24: BF8CC47F
	ds_read_b64 v[56:57], v4                                   // 00000000CB28: D8EC0000 38000004
	ds_read_b64 v[60:61], v4 offset:64                         // 00000000CB30: D8EC0040 3C000004
	ds_read_b64 v[58:59], v4 offset:1152                       // 00000000CB38: D8EC0480 3A000004
	ds_read_b64 v[62:63], v4 offset:1216                       // 00000000CB40: D8EC04C0 3E000004
	s_waitcnt lgkmcnt(4)                                       // 00000000CB48: BF8CC47F
	ds_read_b64 v[64:65], v4 offset:2304                       // 00000000CB4C: D8EC0900 40000004
	ds_read_b64 v[68:69], v4 offset:2368                       // 00000000CB54: D8EC0940 44000004
	ds_read_b64 v[66:67], v4 offset:3456                       // 00000000CB5C: D8EC0D80 42000004
	ds_read_b64 v[70:71], v4 offset:3520                       // 00000000CB64: D8EC0DC0 46000004
	s_waitcnt lgkmcnt(0)                                       // 00000000CB6C: BF8CC07F
	v_mov_b32_e32 v18, v19                                     // 00000000CB70: 7E240313
	buffer_store_dwordx4 v[56:59], v18, s[8:11], 0 offen offset:512// 00000000CB74: E07C1200 80023812
	buffer_store_dwordx4 v[64:67], v18, s[8:11], 0 offen offset:640// 00000000CB7C: E07C1280 80024012
	v_add_u32_e32 v18, 0x2000, v18                             // 00000000CB84: 682424FF 00002000
	buffer_store_dwordx4 v[60:63], v18, s[8:11], 0 offen offset:512// 00000000CB8C: E07C1200 80023C12
	buffer_store_dwordx4 v[68:71], v18, s[8:11], 0 offen offset:640// 00000000CB94: E07C1280 80024412
	v_add_u32_e32 v18, 0x2000, v18                             // 00000000CB9C: 682424FF 00002000
	v_mov_b32_e32 v24, v152                                    // 00000000CBA4: 7E300398
	v_accvgpr_read_b32 v25, a144                               // 00000000CBA8: D3D84019 18000190
	v_accvgpr_read_b32 v26, a148                               // 00000000CBB0: D3D8401A 18000194
	v_accvgpr_read_b32 v27, a152                               // 00000000CBB8: D3D8401B 18000198
	v_mul_f32_e32 v24, s43, v24                                // 00000000CBC0: 0A30302B
	v_mul_f32_e32 v25, s43, v25                                // 00000000CBC4: 0A32322B
	v_mul_f32_e32 v26, s43, v26                                // 00000000CBC8: 0A34342B
	v_mul_f32_e32 v27, s43, v27                                // 00000000CBCC: 0A36362B
	v_cmp_u_f32_e64 s[38:39], v24, v24                         // 00000000CBD0: D0480026 00023118
	v_add3_u32 v28, v24, v31, 1                                // 00000000CBD8: D1FF001C 02063F18
	v_cndmask_b32_e64 v20, v28, v30, s[38:39]                  // 00000000CBE0: D1000014 009A3D1C
	v_cmp_u_f32_e64 s[38:39], v25, v25                         // 00000000CBE8: D0480026 00023319
	v_add3_u32 v28, v25, v31, 1                                // 00000000CBF0: D1FF001C 02063F19
	v_cndmask_b32_e64 v21, v28, v30, s[38:39]                  // 00000000CBF8: D1000015 009A3D1C
	v_perm_b32 v24, v21, v20, s51                              // 00000000CC00: D1ED0018 00CE2915
	v_cmp_u_f32_e64 s[38:39], v26, v26                         // 00000000CC08: D0480026 0002351A
	v_add3_u32 v28, v26, v31, 1                                // 00000000CC10: D1FF001C 02063F1A
	v_cndmask_b32_e64 v20, v28, v30, s[38:39]                  // 00000000CC18: D1000014 009A3D1C
	v_cmp_u_f32_e64 s[38:39], v27, v27                         // 00000000CC20: D0480026 0002371B
	v_add3_u32 v28, v27, v31, 1                                // 00000000CC28: D1FF001C 02063F1B
	v_cndmask_b32_e64 v21, v28, v30, s[38:39]                  // 00000000CC30: D1000015 009A3D1C
	v_perm_b32 v25, v21, v20, s51                              // 00000000CC38: D1ED0019 00CE2915
	ds_write_b64 v5, v[24:25]                                  // 00000000CC40: D89A0000 00001805
	v_mov_b32_e32 v24, v153                                    // 00000000CC48: 7E300399
	v_accvgpr_read_b32 v25, a145                               // 00000000CC4C: D3D84019 18000191
	v_accvgpr_read_b32 v26, a149                               // 00000000CC54: D3D8401A 18000195
	v_accvgpr_read_b32 v27, a153                               // 00000000CC5C: D3D8401B 18000199
	v_mul_f32_e32 v24, s43, v24                                // 00000000CC64: 0A30302B
	v_mul_f32_e32 v25, s43, v25                                // 00000000CC68: 0A32322B
	v_mul_f32_e32 v26, s43, v26                                // 00000000CC6C: 0A34342B
	v_mul_f32_e32 v27, s43, v27                                // 00000000CC70: 0A36362B
	v_cmp_u_f32_e64 s[38:39], v24, v24                         // 00000000CC74: D0480026 00023118
	v_add3_u32 v28, v24, v31, 1                                // 00000000CC7C: D1FF001C 02063F18
	v_cndmask_b32_e64 v20, v28, v30, s[38:39]                  // 00000000CC84: D1000014 009A3D1C
	v_cmp_u_f32_e64 s[38:39], v25, v25                         // 00000000CC8C: D0480026 00023319
	v_add3_u32 v28, v25, v31, 1                                // 00000000CC94: D1FF001C 02063F19
	v_cndmask_b32_e64 v21, v28, v30, s[38:39]                  // 00000000CC9C: D1000015 009A3D1C
	v_perm_b32 v24, v21, v20, s51                              // 00000000CCA4: D1ED0018 00CE2915
	v_cmp_u_f32_e64 s[38:39], v26, v26                         // 00000000CCAC: D0480026 0002351A
	v_add3_u32 v28, v26, v31, 1                                // 00000000CCB4: D1FF001C 02063F1A
	v_cndmask_b32_e64 v20, v28, v30, s[38:39]                  // 00000000CCBC: D1000014 009A3D1C
	v_cmp_u_f32_e64 s[38:39], v27, v27                         // 00000000CCC4: D0480026 0002371B
	v_add3_u32 v28, v27, v31, 1                                // 00000000CCCC: D1FF001C 02063F1B
	v_cndmask_b32_e64 v21, v28, v30, s[38:39]                  // 00000000CCD4: D1000015 009A3D1C
	v_perm_b32 v25, v21, v20, s51                              // 00000000CCDC: D1ED0019 00CE2915
	ds_write_b64 v5, v[24:25] offset:1152                      // 00000000CCE4: D89A0480 00001805
	v_mov_b32_e32 v24, v154                                    // 00000000CCEC: 7E30039A
	v_accvgpr_read_b32 v25, a146                               // 00000000CCF0: D3D84019 18000192
	v_accvgpr_read_b32 v26, a150                               // 00000000CCF8: D3D8401A 18000196
	v_accvgpr_read_b32 v27, a154                               // 00000000CD00: D3D8401B 1800019A
	v_mul_f32_e32 v24, s43, v24                                // 00000000CD08: 0A30302B
	v_mul_f32_e32 v25, s43, v25                                // 00000000CD0C: 0A32322B
	v_mul_f32_e32 v26, s43, v26                                // 00000000CD10: 0A34342B
	v_mul_f32_e32 v27, s43, v27                                // 00000000CD14: 0A36362B
	v_cmp_u_f32_e64 s[38:39], v24, v24                         // 00000000CD18: D0480026 00023118
	v_add3_u32 v28, v24, v31, 1                                // 00000000CD20: D1FF001C 02063F18
	v_cndmask_b32_e64 v20, v28, v30, s[38:39]                  // 00000000CD28: D1000014 009A3D1C
	v_cmp_u_f32_e64 s[38:39], v25, v25                         // 00000000CD30: D0480026 00023319
	v_add3_u32 v28, v25, v31, 1                                // 00000000CD38: D1FF001C 02063F19
	v_cndmask_b32_e64 v21, v28, v30, s[38:39]                  // 00000000CD40: D1000015 009A3D1C
	v_perm_b32 v24, v21, v20, s51                              // 00000000CD48: D1ED0018 00CE2915
	v_cmp_u_f32_e64 s[38:39], v26, v26                         // 00000000CD50: D0480026 0002351A
	v_add3_u32 v28, v26, v31, 1                                // 00000000CD58: D1FF001C 02063F1A
	v_cndmask_b32_e64 v20, v28, v30, s[38:39]                  // 00000000CD60: D1000014 009A3D1C
	v_cmp_u_f32_e64 s[38:39], v27, v27                         // 00000000CD68: D0480026 0002371B
	v_add3_u32 v28, v27, v31, 1                                // 00000000CD70: D1FF001C 02063F1B
	v_cndmask_b32_e64 v21, v28, v30, s[38:39]                  // 00000000CD78: D1000015 009A3D1C
	v_perm_b32 v25, v21, v20, s51                              // 00000000CD80: D1ED0019 00CE2915
	ds_write_b64 v5, v[24:25] offset:144                       // 00000000CD88: D89A0090 00001805
	v_mov_b32_e32 v24, v155                                    // 00000000CD90: 7E30039B
	v_accvgpr_read_b32 v25, a147                               // 00000000CD94: D3D84019 18000193
	v_accvgpr_read_b32 v26, a151                               // 00000000CD9C: D3D8401A 18000197
	v_accvgpr_read_b32 v27, a155                               // 00000000CDA4: D3D8401B 1800019B
	v_mul_f32_e32 v24, s43, v24                                // 00000000CDAC: 0A30302B
	v_mul_f32_e32 v25, s43, v25                                // 00000000CDB0: 0A32322B
	v_mul_f32_e32 v26, s43, v26                                // 00000000CDB4: 0A34342B
	v_mul_f32_e32 v27, s43, v27                                // 00000000CDB8: 0A36362B
	v_cmp_u_f32_e64 s[38:39], v24, v24                         // 00000000CDBC: D0480026 00023118
	v_add3_u32 v28, v24, v31, 1                                // 00000000CDC4: D1FF001C 02063F18
	v_cndmask_b32_e64 v20, v28, v30, s[38:39]                  // 00000000CDCC: D1000014 009A3D1C
	v_cmp_u_f32_e64 s[38:39], v25, v25                         // 00000000CDD4: D0480026 00023319
	v_add3_u32 v28, v25, v31, 1                                // 00000000CDDC: D1FF001C 02063F19
	v_cndmask_b32_e64 v21, v28, v30, s[38:39]                  // 00000000CDE4: D1000015 009A3D1C
	v_perm_b32 v24, v21, v20, s51                              // 00000000CDEC: D1ED0018 00CE2915
	v_cmp_u_f32_e64 s[38:39], v26, v26                         // 00000000CDF4: D0480026 0002351A
	v_add3_u32 v28, v26, v31, 1                                // 00000000CDFC: D1FF001C 02063F1A
	v_cndmask_b32_e64 v20, v28, v30, s[38:39]                  // 00000000CE04: D1000014 009A3D1C
	v_cmp_u_f32_e64 s[38:39], v27, v27                         // 00000000CE0C: D0480026 0002371B
	v_add3_u32 v28, v27, v31, 1                                // 00000000CE14: D1FF001C 02063F1B
	v_cndmask_b32_e64 v21, v28, v30, s[38:39]                  // 00000000CE1C: D1000015 009A3D1C
	v_perm_b32 v25, v21, v20, s51                              // 00000000CE24: D1ED0019 00CE2915
	ds_write_b64 v5, v[24:25] offset:1296                      // 00000000CE2C: D89A0510 00001805
	v_accvgpr_read_b32 v24, a156                               // 00000000CE34: D3D84018 1800019C
	v_accvgpr_read_b32 v25, a160                               // 00000000CE3C: D3D84019 180001A0
	v_accvgpr_read_b32 v26, a164                               // 00000000CE44: D3D8401A 180001A4
	v_accvgpr_read_b32 v27, a168                               // 00000000CE4C: D3D8401B 180001A8
	v_mul_f32_e32 v24, s43, v24                                // 00000000CE54: 0A30302B
	v_mul_f32_e32 v25, s43, v25                                // 00000000CE58: 0A32322B
	v_mul_f32_e32 v26, s43, v26                                // 00000000CE5C: 0A34342B
	v_mul_f32_e32 v27, s43, v27                                // 00000000CE60: 0A36362B
	v_cmp_u_f32_e64 s[38:39], v24, v24                         // 00000000CE64: D0480026 00023118
	v_add3_u32 v28, v24, v31, 1                                // 00000000CE6C: D1FF001C 02063F18
	v_cndmask_b32_e64 v20, v28, v30, s[38:39]                  // 00000000CE74: D1000014 009A3D1C
	v_cmp_u_f32_e64 s[38:39], v25, v25                         // 00000000CE7C: D0480026 00023319
	v_add3_u32 v28, v25, v31, 1                                // 00000000CE84: D1FF001C 02063F19
	v_cndmask_b32_e64 v21, v28, v30, s[38:39]                  // 00000000CE8C: D1000015 009A3D1C
	v_perm_b32 v24, v21, v20, s51                              // 00000000CE94: D1ED0018 00CE2915
	v_cmp_u_f32_e64 s[38:39], v26, v26                         // 00000000CE9C: D0480026 0002351A
	v_add3_u32 v28, v26, v31, 1                                // 00000000CEA4: D1FF001C 02063F1A
	v_cndmask_b32_e64 v20, v28, v30, s[38:39]                  // 00000000CEAC: D1000014 009A3D1C
	v_cmp_u_f32_e64 s[38:39], v27, v27                         // 00000000CEB4: D0480026 0002371B
	v_add3_u32 v28, v27, v31, 1                                // 00000000CEBC: D1FF001C 02063F1B
	v_cndmask_b32_e64 v21, v28, v30, s[38:39]                  // 00000000CEC4: D1000015 009A3D1C
	v_perm_b32 v25, v21, v20, s51                              // 00000000CECC: D1ED0019 00CE2915
	ds_write_b64 v5, v[24:25] offset:2304                      // 00000000CED4: D89A0900 00001805
	v_accvgpr_read_b32 v24, a157                               // 00000000CEDC: D3D84018 1800019D
	v_accvgpr_read_b32 v25, a161                               // 00000000CEE4: D3D84019 180001A1
	v_accvgpr_read_b32 v26, a165                               // 00000000CEEC: D3D8401A 180001A5
	v_accvgpr_read_b32 v27, a169                               // 00000000CEF4: D3D8401B 180001A9
	v_mul_f32_e32 v24, s43, v24                                // 00000000CEFC: 0A30302B
	v_mul_f32_e32 v25, s43, v25                                // 00000000CF00: 0A32322B
	v_mul_f32_e32 v26, s43, v26                                // 00000000CF04: 0A34342B
	v_mul_f32_e32 v27, s43, v27                                // 00000000CF08: 0A36362B
	v_cmp_u_f32_e64 s[38:39], v24, v24                         // 00000000CF0C: D0480026 00023118
	v_add3_u32 v28, v24, v31, 1                                // 00000000CF14: D1FF001C 02063F18
	v_cndmask_b32_e64 v20, v28, v30, s[38:39]                  // 00000000CF1C: D1000014 009A3D1C
	v_cmp_u_f32_e64 s[38:39], v25, v25                         // 00000000CF24: D0480026 00023319
	v_add3_u32 v28, v25, v31, 1                                // 00000000CF2C: D1FF001C 02063F19
	v_cndmask_b32_e64 v21, v28, v30, s[38:39]                  // 00000000CF34: D1000015 009A3D1C
	v_perm_b32 v24, v21, v20, s51                              // 00000000CF3C: D1ED0018 00CE2915
	v_cmp_u_f32_e64 s[38:39], v26, v26                         // 00000000CF44: D0480026 0002351A
	v_add3_u32 v28, v26, v31, 1                                // 00000000CF4C: D1FF001C 02063F1A
	v_cndmask_b32_e64 v20, v28, v30, s[38:39]                  // 00000000CF54: D1000014 009A3D1C
	v_cmp_u_f32_e64 s[38:39], v27, v27                         // 00000000CF5C: D0480026 0002371B
	v_add3_u32 v28, v27, v31, 1                                // 00000000CF64: D1FF001C 02063F1B
	v_cndmask_b32_e64 v21, v28, v30, s[38:39]                  // 00000000CF6C: D1000015 009A3D1C
	v_perm_b32 v25, v21, v20, s51                              // 00000000CF74: D1ED0019 00CE2915
	ds_write_b64 v5, v[24:25] offset:3456                      // 00000000CF7C: D89A0D80 00001805
	v_accvgpr_read_b32 v24, a158                               // 00000000CF84: D3D84018 1800019E
	v_accvgpr_read_b32 v25, a162                               // 00000000CF8C: D3D84019 180001A2
	v_accvgpr_read_b32 v26, a166                               // 00000000CF94: D3D8401A 180001A6
	v_accvgpr_read_b32 v27, a170                               // 00000000CF9C: D3D8401B 180001AA
	v_mul_f32_e32 v24, s43, v24                                // 00000000CFA4: 0A30302B
	v_mul_f32_e32 v25, s43, v25                                // 00000000CFA8: 0A32322B
	v_mul_f32_e32 v26, s43, v26                                // 00000000CFAC: 0A34342B
	v_mul_f32_e32 v27, s43, v27                                // 00000000CFB0: 0A36362B
	v_cmp_u_f32_e64 s[38:39], v24, v24                         // 00000000CFB4: D0480026 00023118
	v_add3_u32 v28, v24, v31, 1                                // 00000000CFBC: D1FF001C 02063F18
	v_cndmask_b32_e64 v20, v28, v30, s[38:39]                  // 00000000CFC4: D1000014 009A3D1C
	v_cmp_u_f32_e64 s[38:39], v25, v25                         // 00000000CFCC: D0480026 00023319
	v_add3_u32 v28, v25, v31, 1                                // 00000000CFD4: D1FF001C 02063F19
	v_cndmask_b32_e64 v21, v28, v30, s[38:39]                  // 00000000CFDC: D1000015 009A3D1C
	v_perm_b32 v24, v21, v20, s51                              // 00000000CFE4: D1ED0018 00CE2915
	v_cmp_u_f32_e64 s[38:39], v26, v26                         // 00000000CFEC: D0480026 0002351A
	v_add3_u32 v28, v26, v31, 1                                // 00000000CFF4: D1FF001C 02063F1A
	v_cndmask_b32_e64 v20, v28, v30, s[38:39]                  // 00000000CFFC: D1000014 009A3D1C
	v_cmp_u_f32_e64 s[38:39], v27, v27                         // 00000000D004: D0480026 0002371B
	v_add3_u32 v28, v27, v31, 1                                // 00000000D00C: D1FF001C 02063F1B
	v_cndmask_b32_e64 v21, v28, v30, s[38:39]                  // 00000000D014: D1000015 009A3D1C
	v_perm_b32 v25, v21, v20, s51                              // 00000000D01C: D1ED0019 00CE2915
	ds_write_b64 v5, v[24:25] offset:2448                      // 00000000D024: D89A0990 00001805
	v_accvgpr_read_b32 v24, a159                               // 00000000D02C: D3D84018 1800019F
	v_accvgpr_read_b32 v25, a163                               // 00000000D034: D3D84019 180001A3
	v_accvgpr_read_b32 v26, a167                               // 00000000D03C: D3D8401A 180001A7
	v_accvgpr_read_b32 v27, a171                               // 00000000D044: D3D8401B 180001AB
	v_mul_f32_e32 v24, s43, v24                                // 00000000D04C: 0A30302B
	v_mul_f32_e32 v25, s43, v25                                // 00000000D050: 0A32322B
	v_mul_f32_e32 v26, s43, v26                                // 00000000D054: 0A34342B
	v_mul_f32_e32 v27, s43, v27                                // 00000000D058: 0A36362B
	v_cmp_u_f32_e64 s[38:39], v24, v24                         // 00000000D05C: D0480026 00023118
	v_add3_u32 v28, v24, v31, 1                                // 00000000D064: D1FF001C 02063F18
	v_cndmask_b32_e64 v20, v28, v30, s[38:39]                  // 00000000D06C: D1000014 009A3D1C
	v_cmp_u_f32_e64 s[38:39], v25, v25                         // 00000000D074: D0480026 00023319
	v_add3_u32 v28, v25, v31, 1                                // 00000000D07C: D1FF001C 02063F19
	v_cndmask_b32_e64 v21, v28, v30, s[38:39]                  // 00000000D084: D1000015 009A3D1C
	v_perm_b32 v24, v21, v20, s51                              // 00000000D08C: D1ED0018 00CE2915
	v_cmp_u_f32_e64 s[38:39], v26, v26                         // 00000000D094: D0480026 0002351A
	v_add3_u32 v28, v26, v31, 1                                // 00000000D09C: D1FF001C 02063F1A
	v_cndmask_b32_e64 v20, v28, v30, s[38:39]                  // 00000000D0A4: D1000014 009A3D1C
	v_cmp_u_f32_e64 s[38:39], v27, v27                         // 00000000D0AC: D0480026 0002371B
	v_add3_u32 v28, v27, v31, 1                                // 00000000D0B4: D1FF001C 02063F1B
	v_cndmask_b32_e64 v21, v28, v30, s[38:39]                  // 00000000D0BC: D1000015 009A3D1C
	v_perm_b32 v25, v21, v20, s51                              // 00000000D0C4: D1ED0019 00CE2915
	ds_write_b64 v5, v[24:25] offset:3600                      // 00000000D0CC: D89A0E10 00001805
	s_waitcnt lgkmcnt(4)                                       // 00000000D0D4: BF8CC47F
	ds_read_b64 v[56:57], v4                                   // 00000000D0D8: D8EC0000 38000004
	ds_read_b64 v[60:61], v4 offset:64                         // 00000000D0E0: D8EC0040 3C000004
	ds_read_b64 v[58:59], v4 offset:1152                       // 00000000D0E8: D8EC0480 3A000004
	ds_read_b64 v[62:63], v4 offset:1216                       // 00000000D0F0: D8EC04C0 3E000004
	s_waitcnt lgkmcnt(4)                                       // 00000000D0F8: BF8CC47F
	ds_read_b64 v[64:65], v4 offset:2304                       // 00000000D0FC: D8EC0900 40000004
	ds_read_b64 v[68:69], v4 offset:2368                       // 00000000D104: D8EC0940 44000004
	ds_read_b64 v[66:67], v4 offset:3456                       // 00000000D10C: D8EC0D80 42000004
	ds_read_b64 v[70:71], v4 offset:3520                       // 00000000D114: D8EC0DC0 46000004
	s_waitcnt lgkmcnt(0)                                       // 00000000D11C: BF8CC07F
	v_mov_b32_e32 v18, v19                                     // 00000000D120: 7E240313
	buffer_store_dwordx4 v[56:59], v18, s[8:11], 0 offen offset:768// 00000000D124: E07C1300 80023812
	buffer_store_dwordx4 v[64:67], v18, s[8:11], 0 offen offset:896// 00000000D12C: E07C1380 80024012
	v_add_u32_e32 v18, 0x2000, v18                             // 00000000D134: 682424FF 00002000
	buffer_store_dwordx4 v[60:63], v18, s[8:11], 0 offen offset:768// 00000000D13C: E07C1300 80023C12
	buffer_store_dwordx4 v[68:71], v18, s[8:11], 0 offen offset:896// 00000000D144: E07C1380 80024412
	v_add_u32_e32 v18, 0x2000, v18                             // 00000000D14C: 682424FF 00002000
	s_mov_b32 s56, 0x10000                                     // 00000000D154: BEB800FF 00010000
	v_add_u32_e64 v19, v19, s56                                // 00000000D15C: D1340013 00007113
	v_mov_b32_e32 v24, v156                                    // 00000000D164: 7E30039C
	v_mov_b32_e32 v25, v160                                    // 00000000D168: 7E3203A0
	v_mov_b32_e32 v26, v164                                    // 00000000D16C: 7E3403A4
	v_mov_b32_e32 v27, v168                                    // 00000000D170: 7E3603A8
	v_mul_f32_e32 v24, s43, v24                                // 00000000D174: 0A30302B
	v_mul_f32_e32 v25, s43, v25                                // 00000000D178: 0A32322B
	v_mul_f32_e32 v26, s43, v26                                // 00000000D17C: 0A34342B
	v_mul_f32_e32 v27, s43, v27                                // 00000000D180: 0A36362B
	v_cmp_u_f32_e64 s[38:39], v24, v24                         // 00000000D184: D0480026 00023118
	v_add3_u32 v28, v24, v31, 1                                // 00000000D18C: D1FF001C 02063F18
	v_cndmask_b32_e64 v20, v28, v30, s[38:39]                  // 00000000D194: D1000014 009A3D1C
	v_cmp_u_f32_e64 s[38:39], v25, v25                         // 00000000D19C: D0480026 00023319
	v_add3_u32 v28, v25, v31, 1                                // 00000000D1A4: D1FF001C 02063F19
	v_cndmask_b32_e64 v21, v28, v30, s[38:39]                  // 00000000D1AC: D1000015 009A3D1C
	v_perm_b32 v24, v21, v20, s51                              // 00000000D1B4: D1ED0018 00CE2915
	v_cmp_u_f32_e64 s[38:39], v26, v26                         // 00000000D1BC: D0480026 0002351A
	v_add3_u32 v28, v26, v31, 1                                // 00000000D1C4: D1FF001C 02063F1A
	v_cndmask_b32_e64 v20, v28, v30, s[38:39]                  // 00000000D1CC: D1000014 009A3D1C
	v_cmp_u_f32_e64 s[38:39], v27, v27                         // 00000000D1D4: D0480026 0002371B
	v_add3_u32 v28, v27, v31, 1                                // 00000000D1DC: D1FF001C 02063F1B
	v_cndmask_b32_e64 v21, v28, v30, s[38:39]                  // 00000000D1E4: D1000015 009A3D1C
	v_perm_b32 v25, v21, v20, s51                              // 00000000D1EC: D1ED0019 00CE2915
	ds_write_b64 v5, v[24:25]                                  // 00000000D1F4: D89A0000 00001805
	v_mov_b32_e32 v24, v157                                    // 00000000D1FC: 7E30039D
	v_mov_b32_e32 v25, v161                                    // 00000000D200: 7E3203A1
	v_mov_b32_e32 v26, v165                                    // 00000000D204: 7E3403A5
	v_mov_b32_e32 v27, v169                                    // 00000000D208: 7E3603A9
	v_mul_f32_e32 v24, s43, v24                                // 00000000D20C: 0A30302B
	v_mul_f32_e32 v25, s43, v25                                // 00000000D210: 0A32322B
	v_mul_f32_e32 v26, s43, v26                                // 00000000D214: 0A34342B
	v_mul_f32_e32 v27, s43, v27                                // 00000000D218: 0A36362B
	v_cmp_u_f32_e64 s[38:39], v24, v24                         // 00000000D21C: D0480026 00023118
	v_add3_u32 v28, v24, v31, 1                                // 00000000D224: D1FF001C 02063F18
	v_cndmask_b32_e64 v20, v28, v30, s[38:39]                  // 00000000D22C: D1000014 009A3D1C
	v_cmp_u_f32_e64 s[38:39], v25, v25                         // 00000000D234: D0480026 00023319
	v_add3_u32 v28, v25, v31, 1                                // 00000000D23C: D1FF001C 02063F19
	v_cndmask_b32_e64 v21, v28, v30, s[38:39]                  // 00000000D244: D1000015 009A3D1C
	v_perm_b32 v24, v21, v20, s51                              // 00000000D24C: D1ED0018 00CE2915
	v_cmp_u_f32_e64 s[38:39], v26, v26                         // 00000000D254: D0480026 0002351A
	v_add3_u32 v28, v26, v31, 1                                // 00000000D25C: D1FF001C 02063F1A
	v_cndmask_b32_e64 v20, v28, v30, s[38:39]                  // 00000000D264: D1000014 009A3D1C
	v_cmp_u_f32_e64 s[38:39], v27, v27                         // 00000000D26C: D0480026 0002371B
	v_add3_u32 v28, v27, v31, 1                                // 00000000D274: D1FF001C 02063F1B
	v_cndmask_b32_e64 v21, v28, v30, s[38:39]                  // 00000000D27C: D1000015 009A3D1C
	v_perm_b32 v25, v21, v20, s51                              // 00000000D284: D1ED0019 00CE2915
	ds_write_b64 v5, v[24:25] offset:1152                      // 00000000D28C: D89A0480 00001805
	v_mov_b32_e32 v24, v158                                    // 00000000D294: 7E30039E
	v_mov_b32_e32 v25, v162                                    // 00000000D298: 7E3203A2
	v_mov_b32_e32 v26, v166                                    // 00000000D29C: 7E3403A6
	v_mov_b32_e32 v27, v170                                    // 00000000D2A0: 7E3603AA
	v_mul_f32_e32 v24, s43, v24                                // 00000000D2A4: 0A30302B
	v_mul_f32_e32 v25, s43, v25                                // 00000000D2A8: 0A32322B
	v_mul_f32_e32 v26, s43, v26                                // 00000000D2AC: 0A34342B
	v_mul_f32_e32 v27, s43, v27                                // 00000000D2B0: 0A36362B
	v_cmp_u_f32_e64 s[38:39], v24, v24                         // 00000000D2B4: D0480026 00023118
	v_add3_u32 v28, v24, v31, 1                                // 00000000D2BC: D1FF001C 02063F18
	v_cndmask_b32_e64 v20, v28, v30, s[38:39]                  // 00000000D2C4: D1000014 009A3D1C
	v_cmp_u_f32_e64 s[38:39], v25, v25                         // 00000000D2CC: D0480026 00023319
	v_add3_u32 v28, v25, v31, 1                                // 00000000D2D4: D1FF001C 02063F19
	v_cndmask_b32_e64 v21, v28, v30, s[38:39]                  // 00000000D2DC: D1000015 009A3D1C
	v_perm_b32 v24, v21, v20, s51                              // 00000000D2E4: D1ED0018 00CE2915
	v_cmp_u_f32_e64 s[38:39], v26, v26                         // 00000000D2EC: D0480026 0002351A
	v_add3_u32 v28, v26, v31, 1                                // 00000000D2F4: D1FF001C 02063F1A
	v_cndmask_b32_e64 v20, v28, v30, s[38:39]                  // 00000000D2FC: D1000014 009A3D1C
	v_cmp_u_f32_e64 s[38:39], v27, v27                         // 00000000D304: D0480026 0002371B
	v_add3_u32 v28, v27, v31, 1                                // 00000000D30C: D1FF001C 02063F1B
	v_cndmask_b32_e64 v21, v28, v30, s[38:39]                  // 00000000D314: D1000015 009A3D1C
	v_perm_b32 v25, v21, v20, s51                              // 00000000D31C: D1ED0019 00CE2915
	ds_write_b64 v5, v[24:25] offset:144                       // 00000000D324: D89A0090 00001805
	v_mov_b32_e32 v24, v159                                    // 00000000D32C: 7E30039F
	v_mov_b32_e32 v25, v163                                    // 00000000D330: 7E3203A3
	v_mov_b32_e32 v26, v167                                    // 00000000D334: 7E3403A7
	v_mov_b32_e32 v27, v171                                    // 00000000D338: 7E3603AB
	v_mul_f32_e32 v24, s43, v24                                // 00000000D33C: 0A30302B
	v_mul_f32_e32 v25, s43, v25                                // 00000000D340: 0A32322B
	v_mul_f32_e32 v26, s43, v26                                // 00000000D344: 0A34342B
	v_mul_f32_e32 v27, s43, v27                                // 00000000D348: 0A36362B
	v_cmp_u_f32_e64 s[38:39], v24, v24                         // 00000000D34C: D0480026 00023118
	v_add3_u32 v28, v24, v31, 1                                // 00000000D354: D1FF001C 02063F18
	v_cndmask_b32_e64 v20, v28, v30, s[38:39]                  // 00000000D35C: D1000014 009A3D1C
	v_cmp_u_f32_e64 s[38:39], v25, v25                         // 00000000D364: D0480026 00023319
	v_add3_u32 v28, v25, v31, 1                                // 00000000D36C: D1FF001C 02063F19
	v_cndmask_b32_e64 v21, v28, v30, s[38:39]                  // 00000000D374: D1000015 009A3D1C
	v_perm_b32 v24, v21, v20, s51                              // 00000000D37C: D1ED0018 00CE2915
	v_cmp_u_f32_e64 s[38:39], v26, v26                         // 00000000D384: D0480026 0002351A
	v_add3_u32 v28, v26, v31, 1                                // 00000000D38C: D1FF001C 02063F1A
	v_cndmask_b32_e64 v20, v28, v30, s[38:39]                  // 00000000D394: D1000014 009A3D1C
	v_cmp_u_f32_e64 s[38:39], v27, v27                         // 00000000D39C: D0480026 0002371B
	v_add3_u32 v28, v27, v31, 1                                // 00000000D3A4: D1FF001C 02063F1B
	v_cndmask_b32_e64 v21, v28, v30, s[38:39]                  // 00000000D3AC: D1000015 009A3D1C
	v_perm_b32 v25, v21, v20, s51                              // 00000000D3B4: D1ED0019 00CE2915
	ds_write_b64 v5, v[24:25] offset:1296                      // 00000000D3BC: D89A0510 00001805
	v_mov_b32_e32 v24, v172                                    // 00000000D3C4: 7E3003AC
	v_mov_b32_e32 v25, v176                                    // 00000000D3C8: 7E3203B0
	v_mov_b32_e32 v26, v180                                    // 00000000D3CC: 7E3403B4
	v_mov_b32_e32 v27, v184                                    // 00000000D3D0: 7E3603B8
	v_mul_f32_e32 v24, s43, v24                                // 00000000D3D4: 0A30302B
	v_mul_f32_e32 v25, s43, v25                                // 00000000D3D8: 0A32322B
	v_mul_f32_e32 v26, s43, v26                                // 00000000D3DC: 0A34342B
	v_mul_f32_e32 v27, s43, v27                                // 00000000D3E0: 0A36362B
	v_cmp_u_f32_e64 s[38:39], v24, v24                         // 00000000D3E4: D0480026 00023118
	v_add3_u32 v28, v24, v31, 1                                // 00000000D3EC: D1FF001C 02063F18
	v_cndmask_b32_e64 v20, v28, v30, s[38:39]                  // 00000000D3F4: D1000014 009A3D1C
	v_cmp_u_f32_e64 s[38:39], v25, v25                         // 00000000D3FC: D0480026 00023319
	v_add3_u32 v28, v25, v31, 1                                // 00000000D404: D1FF001C 02063F19
	v_cndmask_b32_e64 v21, v28, v30, s[38:39]                  // 00000000D40C: D1000015 009A3D1C
	v_perm_b32 v24, v21, v20, s51                              // 00000000D414: D1ED0018 00CE2915
	v_cmp_u_f32_e64 s[38:39], v26, v26                         // 00000000D41C: D0480026 0002351A
	v_add3_u32 v28, v26, v31, 1                                // 00000000D424: D1FF001C 02063F1A
	v_cndmask_b32_e64 v20, v28, v30, s[38:39]                  // 00000000D42C: D1000014 009A3D1C
	v_cmp_u_f32_e64 s[38:39], v27, v27                         // 00000000D434: D0480026 0002371B
	v_add3_u32 v28, v27, v31, 1                                // 00000000D43C: D1FF001C 02063F1B
	v_cndmask_b32_e64 v21, v28, v30, s[38:39]                  // 00000000D444: D1000015 009A3D1C
	v_perm_b32 v25, v21, v20, s51                              // 00000000D44C: D1ED0019 00CE2915
	ds_write_b64 v5, v[24:25] offset:2304                      // 00000000D454: D89A0900 00001805
	v_mov_b32_e32 v24, v173                                    // 00000000D45C: 7E3003AD
	v_mov_b32_e32 v25, v177                                    // 00000000D460: 7E3203B1
	v_mov_b32_e32 v26, v181                                    // 00000000D464: 7E3403B5
	v_mov_b32_e32 v27, v185                                    // 00000000D468: 7E3603B9
	v_mul_f32_e32 v24, s43, v24                                // 00000000D46C: 0A30302B
	v_mul_f32_e32 v25, s43, v25                                // 00000000D470: 0A32322B
	v_mul_f32_e32 v26, s43, v26                                // 00000000D474: 0A34342B
	v_mul_f32_e32 v27, s43, v27                                // 00000000D478: 0A36362B
	v_cmp_u_f32_e64 s[38:39], v24, v24                         // 00000000D47C: D0480026 00023118
	v_add3_u32 v28, v24, v31, 1                                // 00000000D484: D1FF001C 02063F18
	v_cndmask_b32_e64 v20, v28, v30, s[38:39]                  // 00000000D48C: D1000014 009A3D1C
	v_cmp_u_f32_e64 s[38:39], v25, v25                         // 00000000D494: D0480026 00023319
	v_add3_u32 v28, v25, v31, 1                                // 00000000D49C: D1FF001C 02063F19
	v_cndmask_b32_e64 v21, v28, v30, s[38:39]                  // 00000000D4A4: D1000015 009A3D1C
	v_perm_b32 v24, v21, v20, s51                              // 00000000D4AC: D1ED0018 00CE2915
	v_cmp_u_f32_e64 s[38:39], v26, v26                         // 00000000D4B4: D0480026 0002351A
	v_add3_u32 v28, v26, v31, 1                                // 00000000D4BC: D1FF001C 02063F1A
	v_cndmask_b32_e64 v20, v28, v30, s[38:39]                  // 00000000D4C4: D1000014 009A3D1C
	v_cmp_u_f32_e64 s[38:39], v27, v27                         // 00000000D4CC: D0480026 0002371B
	v_add3_u32 v28, v27, v31, 1                                // 00000000D4D4: D1FF001C 02063F1B
	v_cndmask_b32_e64 v21, v28, v30, s[38:39]                  // 00000000D4DC: D1000015 009A3D1C
	v_perm_b32 v25, v21, v20, s51                              // 00000000D4E4: D1ED0019 00CE2915
	ds_write_b64 v5, v[24:25] offset:3456                      // 00000000D4EC: D89A0D80 00001805
	v_mov_b32_e32 v24, v174                                    // 00000000D4F4: 7E3003AE
	v_mov_b32_e32 v25, v178                                    // 00000000D4F8: 7E3203B2
	v_mov_b32_e32 v26, v182                                    // 00000000D4FC: 7E3403B6
	v_mov_b32_e32 v27, v186                                    // 00000000D500: 7E3603BA
	v_mul_f32_e32 v24, s43, v24                                // 00000000D504: 0A30302B
	v_mul_f32_e32 v25, s43, v25                                // 00000000D508: 0A32322B
	v_mul_f32_e32 v26, s43, v26                                // 00000000D50C: 0A34342B
	v_mul_f32_e32 v27, s43, v27                                // 00000000D510: 0A36362B
	v_cmp_u_f32_e64 s[38:39], v24, v24                         // 00000000D514: D0480026 00023118
	v_add3_u32 v28, v24, v31, 1                                // 00000000D51C: D1FF001C 02063F18
	v_cndmask_b32_e64 v20, v28, v30, s[38:39]                  // 00000000D524: D1000014 009A3D1C
	v_cmp_u_f32_e64 s[38:39], v25, v25                         // 00000000D52C: D0480026 00023319
	v_add3_u32 v28, v25, v31, 1                                // 00000000D534: D1FF001C 02063F19
	v_cndmask_b32_e64 v21, v28, v30, s[38:39]                  // 00000000D53C: D1000015 009A3D1C
	v_perm_b32 v24, v21, v20, s51                              // 00000000D544: D1ED0018 00CE2915
	v_cmp_u_f32_e64 s[38:39], v26, v26                         // 00000000D54C: D0480026 0002351A
	v_add3_u32 v28, v26, v31, 1                                // 00000000D554: D1FF001C 02063F1A
	v_cndmask_b32_e64 v20, v28, v30, s[38:39]                  // 00000000D55C: D1000014 009A3D1C
	v_cmp_u_f32_e64 s[38:39], v27, v27                         // 00000000D564: D0480026 0002371B
	v_add3_u32 v28, v27, v31, 1                                // 00000000D56C: D1FF001C 02063F1B
	v_cndmask_b32_e64 v21, v28, v30, s[38:39]                  // 00000000D574: D1000015 009A3D1C
	v_perm_b32 v25, v21, v20, s51                              // 00000000D57C: D1ED0019 00CE2915
	ds_write_b64 v5, v[24:25] offset:2448                      // 00000000D584: D89A0990 00001805
	v_mov_b32_e32 v24, v175                                    // 00000000D58C: 7E3003AF
	v_mov_b32_e32 v25, v179                                    // 00000000D590: 7E3203B3
	v_mov_b32_e32 v26, v183                                    // 00000000D594: 7E3403B7
	v_mov_b32_e32 v27, v187                                    // 00000000D598: 7E3603BB
	v_mul_f32_e32 v24, s43, v24                                // 00000000D59C: 0A30302B
	v_mul_f32_e32 v25, s43, v25                                // 00000000D5A0: 0A32322B
	v_mul_f32_e32 v26, s43, v26                                // 00000000D5A4: 0A34342B
	v_mul_f32_e32 v27, s43, v27                                // 00000000D5A8: 0A36362B
	v_cmp_u_f32_e64 s[38:39], v24, v24                         // 00000000D5AC: D0480026 00023118
	v_add3_u32 v28, v24, v31, 1                                // 00000000D5B4: D1FF001C 02063F18
	v_cndmask_b32_e64 v20, v28, v30, s[38:39]                  // 00000000D5BC: D1000014 009A3D1C
	v_cmp_u_f32_e64 s[38:39], v25, v25                         // 00000000D5C4: D0480026 00023319
	v_add3_u32 v28, v25, v31, 1                                // 00000000D5CC: D1FF001C 02063F19
	v_cndmask_b32_e64 v21, v28, v30, s[38:39]                  // 00000000D5D4: D1000015 009A3D1C
	v_perm_b32 v24, v21, v20, s51                              // 00000000D5DC: D1ED0018 00CE2915
	v_cmp_u_f32_e64 s[38:39], v26, v26                         // 00000000D5E4: D0480026 0002351A
	v_add3_u32 v28, v26, v31, 1                                // 00000000D5EC: D1FF001C 02063F1A
	v_cndmask_b32_e64 v20, v28, v30, s[38:39]                  // 00000000D5F4: D1000014 009A3D1C
	v_cmp_u_f32_e64 s[38:39], v27, v27                         // 00000000D5FC: D0480026 0002371B
	v_add3_u32 v28, v27, v31, 1                                // 00000000D604: D1FF001C 02063F1B
	v_cndmask_b32_e64 v21, v28, v30, s[38:39]                  // 00000000D60C: D1000015 009A3D1C
	v_perm_b32 v25, v21, v20, s51                              // 00000000D614: D1ED0019 00CE2915
	ds_write_b64 v5, v[24:25] offset:3600                      // 00000000D61C: D89A0E10 00001805
	s_waitcnt lgkmcnt(4)                                       // 00000000D624: BF8CC47F
	ds_read_b64 v[56:57], v4                                   // 00000000D628: D8EC0000 38000004
	ds_read_b64 v[60:61], v4 offset:64                         // 00000000D630: D8EC0040 3C000004
	ds_read_b64 v[58:59], v4 offset:1152                       // 00000000D638: D8EC0480 3A000004
	ds_read_b64 v[62:63], v4 offset:1216                       // 00000000D640: D8EC04C0 3E000004
	s_waitcnt lgkmcnt(4)                                       // 00000000D648: BF8CC47F
	ds_read_b64 v[64:65], v4 offset:2304                       // 00000000D64C: D8EC0900 40000004
	ds_read_b64 v[68:69], v4 offset:2368                       // 00000000D654: D8EC0940 44000004
	ds_read_b64 v[66:67], v4 offset:3456                       // 00000000D65C: D8EC0D80 42000004
	ds_read_b64 v[70:71], v4 offset:3520                       // 00000000D664: D8EC0DC0 46000004
	s_waitcnt lgkmcnt(0)                                       // 00000000D66C: BF8CC07F
	v_mov_b32_e32 v18, v19                                     // 00000000D670: 7E240313
	buffer_store_dwordx4 v[56:59], v18, s[8:11], 0 offen       // 00000000D674: E07C1000 80023812
	buffer_store_dwordx4 v[64:67], v18, s[8:11], 0 offen offset:128// 00000000D67C: E07C1080 80024012
	v_add_u32_e32 v18, 0x2000, v18                             // 00000000D684: 682424FF 00002000
	buffer_store_dwordx4 v[60:63], v18, s[8:11], 0 offen       // 00000000D68C: E07C1000 80023C12
	buffer_store_dwordx4 v[68:71], v18, s[8:11], 0 offen offset:128// 00000000D694: E07C1080 80024412
	v_add_u32_e32 v18, 0x2000, v18                             // 00000000D69C: 682424FF 00002000
	v_mov_b32_e32 v24, v188                                    // 00000000D6A4: 7E3003BC
	v_mov_b32_e32 v25, v192                                    // 00000000D6A8: 7E3203C0
	v_mov_b32_e32 v26, v196                                    // 00000000D6AC: 7E3403C4
	v_mov_b32_e32 v27, v200                                    // 00000000D6B0: 7E3603C8
	v_mul_f32_e32 v24, s43, v24                                // 00000000D6B4: 0A30302B
	v_mul_f32_e32 v25, s43, v25                                // 00000000D6B8: 0A32322B
	v_mul_f32_e32 v26, s43, v26                                // 00000000D6BC: 0A34342B
	v_mul_f32_e32 v27, s43, v27                                // 00000000D6C0: 0A36362B
	v_cmp_u_f32_e64 s[38:39], v24, v24                         // 00000000D6C4: D0480026 00023118
	v_add3_u32 v28, v24, v31, 1                                // 00000000D6CC: D1FF001C 02063F18
	v_cndmask_b32_e64 v20, v28, v30, s[38:39]                  // 00000000D6D4: D1000014 009A3D1C
	v_cmp_u_f32_e64 s[38:39], v25, v25                         // 00000000D6DC: D0480026 00023319
	v_add3_u32 v28, v25, v31, 1                                // 00000000D6E4: D1FF001C 02063F19
	v_cndmask_b32_e64 v21, v28, v30, s[38:39]                  // 00000000D6EC: D1000015 009A3D1C
	v_perm_b32 v24, v21, v20, s51                              // 00000000D6F4: D1ED0018 00CE2915
	v_cmp_u_f32_e64 s[38:39], v26, v26                         // 00000000D6FC: D0480026 0002351A
	v_add3_u32 v28, v26, v31, 1                                // 00000000D704: D1FF001C 02063F1A
	v_cndmask_b32_e64 v20, v28, v30, s[38:39]                  // 00000000D70C: D1000014 009A3D1C
	v_cmp_u_f32_e64 s[38:39], v27, v27                         // 00000000D714: D0480026 0002371B
	v_add3_u32 v28, v27, v31, 1                                // 00000000D71C: D1FF001C 02063F1B
	v_cndmask_b32_e64 v21, v28, v30, s[38:39]                  // 00000000D724: D1000015 009A3D1C
	v_perm_b32 v25, v21, v20, s51                              // 00000000D72C: D1ED0019 00CE2915
	ds_write_b64 v5, v[24:25]                                  // 00000000D734: D89A0000 00001805
	v_mov_b32_e32 v24, v189                                    // 00000000D73C: 7E3003BD
	v_mov_b32_e32 v25, v193                                    // 00000000D740: 7E3203C1
	v_mov_b32_e32 v26, v197                                    // 00000000D744: 7E3403C5
	v_mov_b32_e32 v27, v201                                    // 00000000D748: 7E3603C9
	v_mul_f32_e32 v24, s43, v24                                // 00000000D74C: 0A30302B
	v_mul_f32_e32 v25, s43, v25                                // 00000000D750: 0A32322B
	v_mul_f32_e32 v26, s43, v26                                // 00000000D754: 0A34342B
	v_mul_f32_e32 v27, s43, v27                                // 00000000D758: 0A36362B
	v_cmp_u_f32_e64 s[38:39], v24, v24                         // 00000000D75C: D0480026 00023118
	v_add3_u32 v28, v24, v31, 1                                // 00000000D764: D1FF001C 02063F18
	v_cndmask_b32_e64 v20, v28, v30, s[38:39]                  // 00000000D76C: D1000014 009A3D1C
	v_cmp_u_f32_e64 s[38:39], v25, v25                         // 00000000D774: D0480026 00023319
	v_add3_u32 v28, v25, v31, 1                                // 00000000D77C: D1FF001C 02063F19
	v_cndmask_b32_e64 v21, v28, v30, s[38:39]                  // 00000000D784: D1000015 009A3D1C
	v_perm_b32 v24, v21, v20, s51                              // 00000000D78C: D1ED0018 00CE2915
	v_cmp_u_f32_e64 s[38:39], v26, v26                         // 00000000D794: D0480026 0002351A
	v_add3_u32 v28, v26, v31, 1                                // 00000000D79C: D1FF001C 02063F1A
	v_cndmask_b32_e64 v20, v28, v30, s[38:39]                  // 00000000D7A4: D1000014 009A3D1C
	v_cmp_u_f32_e64 s[38:39], v27, v27                         // 00000000D7AC: D0480026 0002371B
	v_add3_u32 v28, v27, v31, 1                                // 00000000D7B4: D1FF001C 02063F1B
	v_cndmask_b32_e64 v21, v28, v30, s[38:39]                  // 00000000D7BC: D1000015 009A3D1C
	v_perm_b32 v25, v21, v20, s51                              // 00000000D7C4: D1ED0019 00CE2915
	ds_write_b64 v5, v[24:25] offset:1152                      // 00000000D7CC: D89A0480 00001805
	v_mov_b32_e32 v24, v190                                    // 00000000D7D4: 7E3003BE
	v_mov_b32_e32 v25, v194                                    // 00000000D7D8: 7E3203C2
	v_mov_b32_e32 v26, v198                                    // 00000000D7DC: 7E3403C6
	v_mov_b32_e32 v27, v202                                    // 00000000D7E0: 7E3603CA
	v_mul_f32_e32 v24, s43, v24                                // 00000000D7E4: 0A30302B
	v_mul_f32_e32 v25, s43, v25                                // 00000000D7E8: 0A32322B
	v_mul_f32_e32 v26, s43, v26                                // 00000000D7EC: 0A34342B
	v_mul_f32_e32 v27, s43, v27                                // 00000000D7F0: 0A36362B
	v_cmp_u_f32_e64 s[38:39], v24, v24                         // 00000000D7F4: D0480026 00023118
	v_add3_u32 v28, v24, v31, 1                                // 00000000D7FC: D1FF001C 02063F18
	v_cndmask_b32_e64 v20, v28, v30, s[38:39]                  // 00000000D804: D1000014 009A3D1C
	v_cmp_u_f32_e64 s[38:39], v25, v25                         // 00000000D80C: D0480026 00023319
	v_add3_u32 v28, v25, v31, 1                                // 00000000D814: D1FF001C 02063F19
	v_cndmask_b32_e64 v21, v28, v30, s[38:39]                  // 00000000D81C: D1000015 009A3D1C
	v_perm_b32 v24, v21, v20, s51                              // 00000000D824: D1ED0018 00CE2915
	v_cmp_u_f32_e64 s[38:39], v26, v26                         // 00000000D82C: D0480026 0002351A
	v_add3_u32 v28, v26, v31, 1                                // 00000000D834: D1FF001C 02063F1A
	v_cndmask_b32_e64 v20, v28, v30, s[38:39]                  // 00000000D83C: D1000014 009A3D1C
	v_cmp_u_f32_e64 s[38:39], v27, v27                         // 00000000D844: D0480026 0002371B
	v_add3_u32 v28, v27, v31, 1                                // 00000000D84C: D1FF001C 02063F1B
	v_cndmask_b32_e64 v21, v28, v30, s[38:39]                  // 00000000D854: D1000015 009A3D1C
	v_perm_b32 v25, v21, v20, s51                              // 00000000D85C: D1ED0019 00CE2915
	ds_write_b64 v5, v[24:25] offset:144                       // 00000000D864: D89A0090 00001805
	v_mov_b32_e32 v24, v191                                    // 00000000D86C: 7E3003BF
	v_mov_b32_e32 v25, v195                                    // 00000000D870: 7E3203C3
	v_mov_b32_e32 v26, v199                                    // 00000000D874: 7E3403C7
	v_mov_b32_e32 v27, v203                                    // 00000000D878: 7E3603CB
	v_mul_f32_e32 v24, s43, v24                                // 00000000D87C: 0A30302B
	v_mul_f32_e32 v25, s43, v25                                // 00000000D880: 0A32322B
	v_mul_f32_e32 v26, s43, v26                                // 00000000D884: 0A34342B
	v_mul_f32_e32 v27, s43, v27                                // 00000000D888: 0A36362B
	v_cmp_u_f32_e64 s[38:39], v24, v24                         // 00000000D88C: D0480026 00023118
	v_add3_u32 v28, v24, v31, 1                                // 00000000D894: D1FF001C 02063F18
	v_cndmask_b32_e64 v20, v28, v30, s[38:39]                  // 00000000D89C: D1000014 009A3D1C
	v_cmp_u_f32_e64 s[38:39], v25, v25                         // 00000000D8A4: D0480026 00023319
	v_add3_u32 v28, v25, v31, 1                                // 00000000D8AC: D1FF001C 02063F19
	v_cndmask_b32_e64 v21, v28, v30, s[38:39]                  // 00000000D8B4: D1000015 009A3D1C
	v_perm_b32 v24, v21, v20, s51                              // 00000000D8BC: D1ED0018 00CE2915
	v_cmp_u_f32_e64 s[38:39], v26, v26                         // 00000000D8C4: D0480026 0002351A
	v_add3_u32 v28, v26, v31, 1                                // 00000000D8CC: D1FF001C 02063F1A
	v_cndmask_b32_e64 v20, v28, v30, s[38:39]                  // 00000000D8D4: D1000014 009A3D1C
	v_cmp_u_f32_e64 s[38:39], v27, v27                         // 00000000D8DC: D0480026 0002371B
	v_add3_u32 v28, v27, v31, 1                                // 00000000D8E4: D1FF001C 02063F1B
	v_cndmask_b32_e64 v21, v28, v30, s[38:39]                  // 00000000D8EC: D1000015 009A3D1C
	v_perm_b32 v25, v21, v20, s51                              // 00000000D8F4: D1ED0019 00CE2915
	ds_write_b64 v5, v[24:25] offset:1296                      // 00000000D8FC: D89A0510 00001805
	v_mov_b32_e32 v24, v204                                    // 00000000D904: 7E3003CC
	v_mov_b32_e32 v25, v208                                    // 00000000D908: 7E3203D0
	v_mov_b32_e32 v26, v212                                    // 00000000D90C: 7E3403D4
	v_mov_b32_e32 v27, v216                                    // 00000000D910: 7E3603D8
	v_mul_f32_e32 v24, s43, v24                                // 00000000D914: 0A30302B
	v_mul_f32_e32 v25, s43, v25                                // 00000000D918: 0A32322B
	v_mul_f32_e32 v26, s43, v26                                // 00000000D91C: 0A34342B
	v_mul_f32_e32 v27, s43, v27                                // 00000000D920: 0A36362B
	v_cmp_u_f32_e64 s[38:39], v24, v24                         // 00000000D924: D0480026 00023118
	v_add3_u32 v28, v24, v31, 1                                // 00000000D92C: D1FF001C 02063F18
	v_cndmask_b32_e64 v20, v28, v30, s[38:39]                  // 00000000D934: D1000014 009A3D1C
	v_cmp_u_f32_e64 s[38:39], v25, v25                         // 00000000D93C: D0480026 00023319
	v_add3_u32 v28, v25, v31, 1                                // 00000000D944: D1FF001C 02063F19
	v_cndmask_b32_e64 v21, v28, v30, s[38:39]                  // 00000000D94C: D1000015 009A3D1C
	v_perm_b32 v24, v21, v20, s51                              // 00000000D954: D1ED0018 00CE2915
	v_cmp_u_f32_e64 s[38:39], v26, v26                         // 00000000D95C: D0480026 0002351A
	v_add3_u32 v28, v26, v31, 1                                // 00000000D964: D1FF001C 02063F1A
	v_cndmask_b32_e64 v20, v28, v30, s[38:39]                  // 00000000D96C: D1000014 009A3D1C
	v_cmp_u_f32_e64 s[38:39], v27, v27                         // 00000000D974: D0480026 0002371B
	v_add3_u32 v28, v27, v31, 1                                // 00000000D97C: D1FF001C 02063F1B
	v_cndmask_b32_e64 v21, v28, v30, s[38:39]                  // 00000000D984: D1000015 009A3D1C
	v_perm_b32 v25, v21, v20, s51                              // 00000000D98C: D1ED0019 00CE2915
	ds_write_b64 v5, v[24:25] offset:2304                      // 00000000D994: D89A0900 00001805
	v_mov_b32_e32 v24, v205                                    // 00000000D99C: 7E3003CD
	v_mov_b32_e32 v25, v209                                    // 00000000D9A0: 7E3203D1
	v_mov_b32_e32 v26, v213                                    // 00000000D9A4: 7E3403D5
	v_mov_b32_e32 v27, v217                                    // 00000000D9A8: 7E3603D9
	v_mul_f32_e32 v24, s43, v24                                // 00000000D9AC: 0A30302B
	v_mul_f32_e32 v25, s43, v25                                // 00000000D9B0: 0A32322B
	v_mul_f32_e32 v26, s43, v26                                // 00000000D9B4: 0A34342B
	v_mul_f32_e32 v27, s43, v27                                // 00000000D9B8: 0A36362B
	v_cmp_u_f32_e64 s[38:39], v24, v24                         // 00000000D9BC: D0480026 00023118
	v_add3_u32 v28, v24, v31, 1                                // 00000000D9C4: D1FF001C 02063F18
	v_cndmask_b32_e64 v20, v28, v30, s[38:39]                  // 00000000D9CC: D1000014 009A3D1C
	v_cmp_u_f32_e64 s[38:39], v25, v25                         // 00000000D9D4: D0480026 00023319
	v_add3_u32 v28, v25, v31, 1                                // 00000000D9DC: D1FF001C 02063F19
	v_cndmask_b32_e64 v21, v28, v30, s[38:39]                  // 00000000D9E4: D1000015 009A3D1C
	v_perm_b32 v24, v21, v20, s51                              // 00000000D9EC: D1ED0018 00CE2915
	v_cmp_u_f32_e64 s[38:39], v26, v26                         // 00000000D9F4: D0480026 0002351A
	v_add3_u32 v28, v26, v31, 1                                // 00000000D9FC: D1FF001C 02063F1A
	v_cndmask_b32_e64 v20, v28, v30, s[38:39]                  // 00000000DA04: D1000014 009A3D1C
	v_cmp_u_f32_e64 s[38:39], v27, v27                         // 00000000DA0C: D0480026 0002371B
	v_add3_u32 v28, v27, v31, 1                                // 00000000DA14: D1FF001C 02063F1B
	v_cndmask_b32_e64 v21, v28, v30, s[38:39]                  // 00000000DA1C: D1000015 009A3D1C
	v_perm_b32 v25, v21, v20, s51                              // 00000000DA24: D1ED0019 00CE2915
	ds_write_b64 v5, v[24:25] offset:3456                      // 00000000DA2C: D89A0D80 00001805
	v_mov_b32_e32 v24, v206                                    // 00000000DA34: 7E3003CE
	v_mov_b32_e32 v25, v210                                    // 00000000DA38: 7E3203D2
	v_mov_b32_e32 v26, v214                                    // 00000000DA3C: 7E3403D6
	v_mov_b32_e32 v27, v218                                    // 00000000DA40: 7E3603DA
	v_mul_f32_e32 v24, s43, v24                                // 00000000DA44: 0A30302B
	v_mul_f32_e32 v25, s43, v25                                // 00000000DA48: 0A32322B
	v_mul_f32_e32 v26, s43, v26                                // 00000000DA4C: 0A34342B
	v_mul_f32_e32 v27, s43, v27                                // 00000000DA50: 0A36362B
	v_cmp_u_f32_e64 s[38:39], v24, v24                         // 00000000DA54: D0480026 00023118
	v_add3_u32 v28, v24, v31, 1                                // 00000000DA5C: D1FF001C 02063F18
	v_cndmask_b32_e64 v20, v28, v30, s[38:39]                  // 00000000DA64: D1000014 009A3D1C
	v_cmp_u_f32_e64 s[38:39], v25, v25                         // 00000000DA6C: D0480026 00023319
	v_add3_u32 v28, v25, v31, 1                                // 00000000DA74: D1FF001C 02063F19
	v_cndmask_b32_e64 v21, v28, v30, s[38:39]                  // 00000000DA7C: D1000015 009A3D1C
	v_perm_b32 v24, v21, v20, s51                              // 00000000DA84: D1ED0018 00CE2915
	v_cmp_u_f32_e64 s[38:39], v26, v26                         // 00000000DA8C: D0480026 0002351A
	v_add3_u32 v28, v26, v31, 1                                // 00000000DA94: D1FF001C 02063F1A
	v_cndmask_b32_e64 v20, v28, v30, s[38:39]                  // 00000000DA9C: D1000014 009A3D1C
	v_cmp_u_f32_e64 s[38:39], v27, v27                         // 00000000DAA4: D0480026 0002371B
	v_add3_u32 v28, v27, v31, 1                                // 00000000DAAC: D1FF001C 02063F1B
	v_cndmask_b32_e64 v21, v28, v30, s[38:39]                  // 00000000DAB4: D1000015 009A3D1C
	v_perm_b32 v25, v21, v20, s51                              // 00000000DABC: D1ED0019 00CE2915
	ds_write_b64 v5, v[24:25] offset:2448                      // 00000000DAC4: D89A0990 00001805
	v_mov_b32_e32 v24, v207                                    // 00000000DACC: 7E3003CF
	v_mov_b32_e32 v25, v211                                    // 00000000DAD0: 7E3203D3
	v_mov_b32_e32 v26, v215                                    // 00000000DAD4: 7E3403D7
	v_mov_b32_e32 v27, v219                                    // 00000000DAD8: 7E3603DB
	v_mul_f32_e32 v24, s43, v24                                // 00000000DADC: 0A30302B
	v_mul_f32_e32 v25, s43, v25                                // 00000000DAE0: 0A32322B
	v_mul_f32_e32 v26, s43, v26                                // 00000000DAE4: 0A34342B
	v_mul_f32_e32 v27, s43, v27                                // 00000000DAE8: 0A36362B
	v_cmp_u_f32_e64 s[38:39], v24, v24                         // 00000000DAEC: D0480026 00023118
	v_add3_u32 v28, v24, v31, 1                                // 00000000DAF4: D1FF001C 02063F18
	v_cndmask_b32_e64 v20, v28, v30, s[38:39]                  // 00000000DAFC: D1000014 009A3D1C
	v_cmp_u_f32_e64 s[38:39], v25, v25                         // 00000000DB04: D0480026 00023319
	v_add3_u32 v28, v25, v31, 1                                // 00000000DB0C: D1FF001C 02063F19
	v_cndmask_b32_e64 v21, v28, v30, s[38:39]                  // 00000000DB14: D1000015 009A3D1C
	v_perm_b32 v24, v21, v20, s51                              // 00000000DB1C: D1ED0018 00CE2915
	v_cmp_u_f32_e64 s[38:39], v26, v26                         // 00000000DB24: D0480026 0002351A
	v_add3_u32 v28, v26, v31, 1                                // 00000000DB2C: D1FF001C 02063F1A
	v_cndmask_b32_e64 v20, v28, v30, s[38:39]                  // 00000000DB34: D1000014 009A3D1C
	v_cmp_u_f32_e64 s[38:39], v27, v27                         // 00000000DB3C: D0480026 0002371B
	v_add3_u32 v28, v27, v31, 1                                // 00000000DB44: D1FF001C 02063F1B
	v_cndmask_b32_e64 v21, v28, v30, s[38:39]                  // 00000000DB4C: D1000015 009A3D1C
	v_perm_b32 v25, v21, v20, s51                              // 00000000DB54: D1ED0019 00CE2915
	ds_write_b64 v5, v[24:25] offset:3600                      // 00000000DB5C: D89A0E10 00001805
	s_waitcnt lgkmcnt(4)                                       // 00000000DB64: BF8CC47F
	ds_read_b64 v[56:57], v4                                   // 00000000DB68: D8EC0000 38000004
	ds_read_b64 v[60:61], v4 offset:64                         // 00000000DB70: D8EC0040 3C000004
	ds_read_b64 v[58:59], v4 offset:1152                       // 00000000DB78: D8EC0480 3A000004
	ds_read_b64 v[62:63], v4 offset:1216                       // 00000000DB80: D8EC04C0 3E000004
	s_waitcnt lgkmcnt(4)                                       // 00000000DB88: BF8CC47F
	ds_read_b64 v[64:65], v4 offset:2304                       // 00000000DB8C: D8EC0900 40000004
	ds_read_b64 v[68:69], v4 offset:2368                       // 00000000DB94: D8EC0940 44000004
	ds_read_b64 v[66:67], v4 offset:3456                       // 00000000DB9C: D8EC0D80 42000004
	ds_read_b64 v[70:71], v4 offset:3520                       // 00000000DBA4: D8EC0DC0 46000004
	s_waitcnt lgkmcnt(0)                                       // 00000000DBAC: BF8CC07F
	v_mov_b32_e32 v18, v19                                     // 00000000DBB0: 7E240313
	buffer_store_dwordx4 v[56:59], v18, s[8:11], 0 offen offset:256// 00000000DBB4: E07C1100 80023812
	buffer_store_dwordx4 v[64:67], v18, s[8:11], 0 offen offset:384// 00000000DBBC: E07C1180 80024012
	v_add_u32_e32 v18, 0x2000, v18                             // 00000000DBC4: 682424FF 00002000
	buffer_store_dwordx4 v[60:63], v18, s[8:11], 0 offen offset:256// 00000000DBCC: E07C1100 80023C12
	buffer_store_dwordx4 v[68:71], v18, s[8:11], 0 offen offset:384// 00000000DBD4: E07C1180 80024412
	v_add_u32_e32 v18, 0x2000, v18                             // 00000000DBDC: 682424FF 00002000
	v_mov_b32_e32 v24, v220                                    // 00000000DBE4: 7E3003DC
	v_mov_b32_e32 v25, v224                                    // 00000000DBE8: 7E3203E0
	v_mov_b32_e32 v26, v228                                    // 00000000DBEC: 7E3403E4
	v_mov_b32_e32 v27, v232                                    // 00000000DBF0: 7E3603E8
	v_mul_f32_e32 v24, s43, v24                                // 00000000DBF4: 0A30302B
	v_mul_f32_e32 v25, s43, v25                                // 00000000DBF8: 0A32322B
	v_mul_f32_e32 v26, s43, v26                                // 00000000DBFC: 0A34342B
	v_mul_f32_e32 v27, s43, v27                                // 00000000DC00: 0A36362B
	v_cmp_u_f32_e64 s[38:39], v24, v24                         // 00000000DC04: D0480026 00023118
	v_add3_u32 v28, v24, v31, 1                                // 00000000DC0C: D1FF001C 02063F18
	v_cndmask_b32_e64 v20, v28, v30, s[38:39]                  // 00000000DC14: D1000014 009A3D1C
	v_cmp_u_f32_e64 s[38:39], v25, v25                         // 00000000DC1C: D0480026 00023319
	v_add3_u32 v28, v25, v31, 1                                // 00000000DC24: D1FF001C 02063F19
	v_cndmask_b32_e64 v21, v28, v30, s[38:39]                  // 00000000DC2C: D1000015 009A3D1C
	v_perm_b32 v24, v21, v20, s51                              // 00000000DC34: D1ED0018 00CE2915
	v_cmp_u_f32_e64 s[38:39], v26, v26                         // 00000000DC3C: D0480026 0002351A
	v_add3_u32 v28, v26, v31, 1                                // 00000000DC44: D1FF001C 02063F1A
	v_cndmask_b32_e64 v20, v28, v30, s[38:39]                  // 00000000DC4C: D1000014 009A3D1C
	v_cmp_u_f32_e64 s[38:39], v27, v27                         // 00000000DC54: D0480026 0002371B
	v_add3_u32 v28, v27, v31, 1                                // 00000000DC5C: D1FF001C 02063F1B
	v_cndmask_b32_e64 v21, v28, v30, s[38:39]                  // 00000000DC64: D1000015 009A3D1C
	v_perm_b32 v25, v21, v20, s51                              // 00000000DC6C: D1ED0019 00CE2915
	ds_write_b64 v5, v[24:25]                                  // 00000000DC74: D89A0000 00001805
	v_mov_b32_e32 v24, v221                                    // 00000000DC7C: 7E3003DD
	v_mov_b32_e32 v25, v225                                    // 00000000DC80: 7E3203E1
	v_mov_b32_e32 v26, v229                                    // 00000000DC84: 7E3403E5
	v_mov_b32_e32 v27, v233                                    // 00000000DC88: 7E3603E9
	v_mul_f32_e32 v24, s43, v24                                // 00000000DC8C: 0A30302B
	v_mul_f32_e32 v25, s43, v25                                // 00000000DC90: 0A32322B
	v_mul_f32_e32 v26, s43, v26                                // 00000000DC94: 0A34342B
	v_mul_f32_e32 v27, s43, v27                                // 00000000DC98: 0A36362B
	v_cmp_u_f32_e64 s[38:39], v24, v24                         // 00000000DC9C: D0480026 00023118
	v_add3_u32 v28, v24, v31, 1                                // 00000000DCA4: D1FF001C 02063F18
	v_cndmask_b32_e64 v20, v28, v30, s[38:39]                  // 00000000DCAC: D1000014 009A3D1C
	v_cmp_u_f32_e64 s[38:39], v25, v25                         // 00000000DCB4: D0480026 00023319
	v_add3_u32 v28, v25, v31, 1                                // 00000000DCBC: D1FF001C 02063F19
	v_cndmask_b32_e64 v21, v28, v30, s[38:39]                  // 00000000DCC4: D1000015 009A3D1C
	v_perm_b32 v24, v21, v20, s51                              // 00000000DCCC: D1ED0018 00CE2915
	v_cmp_u_f32_e64 s[38:39], v26, v26                         // 00000000DCD4: D0480026 0002351A
	v_add3_u32 v28, v26, v31, 1                                // 00000000DCDC: D1FF001C 02063F1A
	v_cndmask_b32_e64 v20, v28, v30, s[38:39]                  // 00000000DCE4: D1000014 009A3D1C
	v_cmp_u_f32_e64 s[38:39], v27, v27                         // 00000000DCEC: D0480026 0002371B
	v_add3_u32 v28, v27, v31, 1                                // 00000000DCF4: D1FF001C 02063F1B
	v_cndmask_b32_e64 v21, v28, v30, s[38:39]                  // 00000000DCFC: D1000015 009A3D1C
	v_perm_b32 v25, v21, v20, s51                              // 00000000DD04: D1ED0019 00CE2915
	ds_write_b64 v5, v[24:25] offset:1152                      // 00000000DD0C: D89A0480 00001805
	v_mov_b32_e32 v24, v222                                    // 00000000DD14: 7E3003DE
	v_mov_b32_e32 v25, v226                                    // 00000000DD18: 7E3203E2
	v_mov_b32_e32 v26, v230                                    // 00000000DD1C: 7E3403E6
	v_mov_b32_e32 v27, v234                                    // 00000000DD20: 7E3603EA
	v_mul_f32_e32 v24, s43, v24                                // 00000000DD24: 0A30302B
	v_mul_f32_e32 v25, s43, v25                                // 00000000DD28: 0A32322B
	v_mul_f32_e32 v26, s43, v26                                // 00000000DD2C: 0A34342B
	v_mul_f32_e32 v27, s43, v27                                // 00000000DD30: 0A36362B
	v_cmp_u_f32_e64 s[38:39], v24, v24                         // 00000000DD34: D0480026 00023118
	v_add3_u32 v28, v24, v31, 1                                // 00000000DD3C: D1FF001C 02063F18
	v_cndmask_b32_e64 v20, v28, v30, s[38:39]                  // 00000000DD44: D1000014 009A3D1C
	v_cmp_u_f32_e64 s[38:39], v25, v25                         // 00000000DD4C: D0480026 00023319
	v_add3_u32 v28, v25, v31, 1                                // 00000000DD54: D1FF001C 02063F19
	v_cndmask_b32_e64 v21, v28, v30, s[38:39]                  // 00000000DD5C: D1000015 009A3D1C
	v_perm_b32 v24, v21, v20, s51                              // 00000000DD64: D1ED0018 00CE2915
	v_cmp_u_f32_e64 s[38:39], v26, v26                         // 00000000DD6C: D0480026 0002351A
	v_add3_u32 v28, v26, v31, 1                                // 00000000DD74: D1FF001C 02063F1A
	v_cndmask_b32_e64 v20, v28, v30, s[38:39]                  // 00000000DD7C: D1000014 009A3D1C
	v_cmp_u_f32_e64 s[38:39], v27, v27                         // 00000000DD84: D0480026 0002371B
	v_add3_u32 v28, v27, v31, 1                                // 00000000DD8C: D1FF001C 02063F1B
	v_cndmask_b32_e64 v21, v28, v30, s[38:39]                  // 00000000DD94: D1000015 009A3D1C
	v_perm_b32 v25, v21, v20, s51                              // 00000000DD9C: D1ED0019 00CE2915
	ds_write_b64 v5, v[24:25] offset:144                       // 00000000DDA4: D89A0090 00001805
	v_mov_b32_e32 v24, v223                                    // 00000000DDAC: 7E3003DF
	v_mov_b32_e32 v25, v227                                    // 00000000DDB0: 7E3203E3
	v_mov_b32_e32 v26, v231                                    // 00000000DDB4: 7E3403E7
	v_mov_b32_e32 v27, v235                                    // 00000000DDB8: 7E3603EB
	v_mul_f32_e32 v24, s43, v24                                // 00000000DDBC: 0A30302B
	v_mul_f32_e32 v25, s43, v25                                // 00000000DDC0: 0A32322B
	v_mul_f32_e32 v26, s43, v26                                // 00000000DDC4: 0A34342B
	v_mul_f32_e32 v27, s43, v27                                // 00000000DDC8: 0A36362B
	v_cmp_u_f32_e64 s[38:39], v24, v24                         // 00000000DDCC: D0480026 00023118
	v_add3_u32 v28, v24, v31, 1                                // 00000000DDD4: D1FF001C 02063F18
	v_cndmask_b32_e64 v20, v28, v30, s[38:39]                  // 00000000DDDC: D1000014 009A3D1C
	v_cmp_u_f32_e64 s[38:39], v25, v25                         // 00000000DDE4: D0480026 00023319
	v_add3_u32 v28, v25, v31, 1                                // 00000000DDEC: D1FF001C 02063F19
	v_cndmask_b32_e64 v21, v28, v30, s[38:39]                  // 00000000DDF4: D1000015 009A3D1C
	v_perm_b32 v24, v21, v20, s51                              // 00000000DDFC: D1ED0018 00CE2915
	v_cmp_u_f32_e64 s[38:39], v26, v26                         // 00000000DE04: D0480026 0002351A
	v_add3_u32 v28, v26, v31, 1                                // 00000000DE0C: D1FF001C 02063F1A
	v_cndmask_b32_e64 v20, v28, v30, s[38:39]                  // 00000000DE14: D1000014 009A3D1C
	v_cmp_u_f32_e64 s[38:39], v27, v27                         // 00000000DE1C: D0480026 0002371B
	v_add3_u32 v28, v27, v31, 1                                // 00000000DE24: D1FF001C 02063F1B
	v_cndmask_b32_e64 v21, v28, v30, s[38:39]                  // 00000000DE2C: D1000015 009A3D1C
	v_perm_b32 v25, v21, v20, s51                              // 00000000DE34: D1ED0019 00CE2915
	ds_write_b64 v5, v[24:25] offset:1296                      // 00000000DE3C: D89A0510 00001805
	v_mov_b32_e32 v24, v236                                    // 00000000DE44: 7E3003EC
	v_mov_b32_e32 v25, v240                                    // 00000000DE48: 7E3203F0
	v_mov_b32_e32 v26, v244                                    // 00000000DE4C: 7E3403F4
	v_mov_b32_e32 v27, v248                                    // 00000000DE50: 7E3603F8
	v_mul_f32_e32 v24, s43, v24                                // 00000000DE54: 0A30302B
	v_mul_f32_e32 v25, s43, v25                                // 00000000DE58: 0A32322B
	v_mul_f32_e32 v26, s43, v26                                // 00000000DE5C: 0A34342B
	v_mul_f32_e32 v27, s43, v27                                // 00000000DE60: 0A36362B
	v_cmp_u_f32_e64 s[38:39], v24, v24                         // 00000000DE64: D0480026 00023118
	v_add3_u32 v28, v24, v31, 1                                // 00000000DE6C: D1FF001C 02063F18
	v_cndmask_b32_e64 v20, v28, v30, s[38:39]                  // 00000000DE74: D1000014 009A3D1C
	v_cmp_u_f32_e64 s[38:39], v25, v25                         // 00000000DE7C: D0480026 00023319
	v_add3_u32 v28, v25, v31, 1                                // 00000000DE84: D1FF001C 02063F19
	v_cndmask_b32_e64 v21, v28, v30, s[38:39]                  // 00000000DE8C: D1000015 009A3D1C
	v_perm_b32 v24, v21, v20, s51                              // 00000000DE94: D1ED0018 00CE2915
	v_cmp_u_f32_e64 s[38:39], v26, v26                         // 00000000DE9C: D0480026 0002351A
	v_add3_u32 v28, v26, v31, 1                                // 00000000DEA4: D1FF001C 02063F1A
	v_cndmask_b32_e64 v20, v28, v30, s[38:39]                  // 00000000DEAC: D1000014 009A3D1C
	v_cmp_u_f32_e64 s[38:39], v27, v27                         // 00000000DEB4: D0480026 0002371B
	v_add3_u32 v28, v27, v31, 1                                // 00000000DEBC: D1FF001C 02063F1B
	v_cndmask_b32_e64 v21, v28, v30, s[38:39]                  // 00000000DEC4: D1000015 009A3D1C
	v_perm_b32 v25, v21, v20, s51                              // 00000000DECC: D1ED0019 00CE2915
	ds_write_b64 v5, v[24:25] offset:2304                      // 00000000DED4: D89A0900 00001805
	v_mov_b32_e32 v24, v237                                    // 00000000DEDC: 7E3003ED
	v_mov_b32_e32 v25, v241                                    // 00000000DEE0: 7E3203F1
	v_mov_b32_e32 v26, v245                                    // 00000000DEE4: 7E3403F5
	v_mov_b32_e32 v27, v249                                    // 00000000DEE8: 7E3603F9
	v_mul_f32_e32 v24, s43, v24                                // 00000000DEEC: 0A30302B
	v_mul_f32_e32 v25, s43, v25                                // 00000000DEF0: 0A32322B
	v_mul_f32_e32 v26, s43, v26                                // 00000000DEF4: 0A34342B
	v_mul_f32_e32 v27, s43, v27                                // 00000000DEF8: 0A36362B
	v_cmp_u_f32_e64 s[38:39], v24, v24                         // 00000000DEFC: D0480026 00023118
	v_add3_u32 v28, v24, v31, 1                                // 00000000DF04: D1FF001C 02063F18
	v_cndmask_b32_e64 v20, v28, v30, s[38:39]                  // 00000000DF0C: D1000014 009A3D1C
	v_cmp_u_f32_e64 s[38:39], v25, v25                         // 00000000DF14: D0480026 00023319
	v_add3_u32 v28, v25, v31, 1                                // 00000000DF1C: D1FF001C 02063F19
	v_cndmask_b32_e64 v21, v28, v30, s[38:39]                  // 00000000DF24: D1000015 009A3D1C
	v_perm_b32 v24, v21, v20, s51                              // 00000000DF2C: D1ED0018 00CE2915
	v_cmp_u_f32_e64 s[38:39], v26, v26                         // 00000000DF34: D0480026 0002351A
	v_add3_u32 v28, v26, v31, 1                                // 00000000DF3C: D1FF001C 02063F1A
	v_cndmask_b32_e64 v20, v28, v30, s[38:39]                  // 00000000DF44: D1000014 009A3D1C
	v_cmp_u_f32_e64 s[38:39], v27, v27                         // 00000000DF4C: D0480026 0002371B
	v_add3_u32 v28, v27, v31, 1                                // 00000000DF54: D1FF001C 02063F1B
	v_cndmask_b32_e64 v21, v28, v30, s[38:39]                  // 00000000DF5C: D1000015 009A3D1C
	v_perm_b32 v25, v21, v20, s51                              // 00000000DF64: D1ED0019 00CE2915
	ds_write_b64 v5, v[24:25] offset:3456                      // 00000000DF6C: D89A0D80 00001805
	v_mov_b32_e32 v24, v238                                    // 00000000DF74: 7E3003EE
	v_mov_b32_e32 v25, v242                                    // 00000000DF78: 7E3203F2
	v_mov_b32_e32 v26, v246                                    // 00000000DF7C: 7E3403F6
	v_mov_b32_e32 v27, v250                                    // 00000000DF80: 7E3603FA
	v_mul_f32_e32 v24, s43, v24                                // 00000000DF84: 0A30302B
	v_mul_f32_e32 v25, s43, v25                                // 00000000DF88: 0A32322B
	v_mul_f32_e32 v26, s43, v26                                // 00000000DF8C: 0A34342B
	v_mul_f32_e32 v27, s43, v27                                // 00000000DF90: 0A36362B
	v_cmp_u_f32_e64 s[38:39], v24, v24                         // 00000000DF94: D0480026 00023118
	v_add3_u32 v28, v24, v31, 1                                // 00000000DF9C: D1FF001C 02063F18
	v_cndmask_b32_e64 v20, v28, v30, s[38:39]                  // 00000000DFA4: D1000014 009A3D1C
	v_cmp_u_f32_e64 s[38:39], v25, v25                         // 00000000DFAC: D0480026 00023319
	v_add3_u32 v28, v25, v31, 1                                // 00000000DFB4: D1FF001C 02063F19
	v_cndmask_b32_e64 v21, v28, v30, s[38:39]                  // 00000000DFBC: D1000015 009A3D1C
	v_perm_b32 v24, v21, v20, s51                              // 00000000DFC4: D1ED0018 00CE2915
	v_cmp_u_f32_e64 s[38:39], v26, v26                         // 00000000DFCC: D0480026 0002351A
	v_add3_u32 v28, v26, v31, 1                                // 00000000DFD4: D1FF001C 02063F1A
	v_cndmask_b32_e64 v20, v28, v30, s[38:39]                  // 00000000DFDC: D1000014 009A3D1C
	v_cmp_u_f32_e64 s[38:39], v27, v27                         // 00000000DFE4: D0480026 0002371B
	v_add3_u32 v28, v27, v31, 1                                // 00000000DFEC: D1FF001C 02063F1B
	v_cndmask_b32_e64 v21, v28, v30, s[38:39]                  // 00000000DFF4: D1000015 009A3D1C
	v_perm_b32 v25, v21, v20, s51                              // 00000000DFFC: D1ED0019 00CE2915
	ds_write_b64 v5, v[24:25] offset:2448                      // 00000000E004: D89A0990 00001805
	v_mov_b32_e32 v24, v239                                    // 00000000E00C: 7E3003EF
	v_mov_b32_e32 v25, v243                                    // 00000000E010: 7E3203F3
	v_mov_b32_e32 v26, v247                                    // 00000000E014: 7E3403F7
	v_mov_b32_e32 v27, v251                                    // 00000000E018: 7E3603FB
	v_mul_f32_e32 v24, s43, v24                                // 00000000E01C: 0A30302B
	v_mul_f32_e32 v25, s43, v25                                // 00000000E020: 0A32322B
	v_mul_f32_e32 v26, s43, v26                                // 00000000E024: 0A34342B
	v_mul_f32_e32 v27, s43, v27                                // 00000000E028: 0A36362B
	v_cmp_u_f32_e64 s[38:39], v24, v24                         // 00000000E02C: D0480026 00023118
	v_add3_u32 v28, v24, v31, 1                                // 00000000E034: D1FF001C 02063F18
	v_cndmask_b32_e64 v20, v28, v30, s[38:39]                  // 00000000E03C: D1000014 009A3D1C
	v_cmp_u_f32_e64 s[38:39], v25, v25                         // 00000000E044: D0480026 00023319
	v_add3_u32 v28, v25, v31, 1                                // 00000000E04C: D1FF001C 02063F19
	v_cndmask_b32_e64 v21, v28, v30, s[38:39]                  // 00000000E054: D1000015 009A3D1C
	v_perm_b32 v24, v21, v20, s51                              // 00000000E05C: D1ED0018 00CE2915
	v_cmp_u_f32_e64 s[38:39], v26, v26                         // 00000000E064: D0480026 0002351A
	v_add3_u32 v28, v26, v31, 1                                // 00000000E06C: D1FF001C 02063F1A
	v_cndmask_b32_e64 v20, v28, v30, s[38:39]                  // 00000000E074: D1000014 009A3D1C
	v_cmp_u_f32_e64 s[38:39], v27, v27                         // 00000000E07C: D0480026 0002371B
	v_add3_u32 v28, v27, v31, 1                                // 00000000E084: D1FF001C 02063F1B
	v_cndmask_b32_e64 v21, v28, v30, s[38:39]                  // 00000000E08C: D1000015 009A3D1C
	v_perm_b32 v25, v21, v20, s51                              // 00000000E094: D1ED0019 00CE2915
	ds_write_b64 v5, v[24:25] offset:3600                      // 00000000E09C: D89A0E10 00001805
	s_waitcnt lgkmcnt(4)                                       // 00000000E0A4: BF8CC47F
	ds_read_b64 v[56:57], v4                                   // 00000000E0A8: D8EC0000 38000004
	ds_read_b64 v[60:61], v4 offset:64                         // 00000000E0B0: D8EC0040 3C000004
	ds_read_b64 v[58:59], v4 offset:1152                       // 00000000E0B8: D8EC0480 3A000004
	ds_read_b64 v[62:63], v4 offset:1216                       // 00000000E0C0: D8EC04C0 3E000004
	s_waitcnt lgkmcnt(4)                                       // 00000000E0C8: BF8CC47F
	ds_read_b64 v[64:65], v4 offset:2304                       // 00000000E0CC: D8EC0900 40000004
	ds_read_b64 v[68:69], v4 offset:2368                       // 00000000E0D4: D8EC0940 44000004
	ds_read_b64 v[66:67], v4 offset:3456                       // 00000000E0DC: D8EC0D80 42000004
	ds_read_b64 v[70:71], v4 offset:3520                       // 00000000E0E4: D8EC0DC0 46000004
	s_waitcnt lgkmcnt(0)                                       // 00000000E0EC: BF8CC07F
	v_mov_b32_e32 v18, v19                                     // 00000000E0F0: 7E240313
	buffer_store_dwordx4 v[56:59], v18, s[8:11], 0 offen offset:512// 00000000E0F4: E07C1200 80023812
	buffer_store_dwordx4 v[64:67], v18, s[8:11], 0 offen offset:640// 00000000E0FC: E07C1280 80024012
	v_add_u32_e32 v18, 0x2000, v18                             // 00000000E104: 682424FF 00002000
	buffer_store_dwordx4 v[60:63], v18, s[8:11], 0 offen offset:512// 00000000E10C: E07C1200 80023C12
	buffer_store_dwordx4 v[68:71], v18, s[8:11], 0 offen offset:640// 00000000E114: E07C1280 80024412
	v_add_u32_e32 v18, 0x2000, v18                             // 00000000E11C: 682424FF 00002000
	v_mov_b32_e32 v24, v252                                    // 00000000E124: 7E3003FC
	v_accvgpr_read_b32 v25, a172                               // 00000000E128: D3D84019 180001AC
	v_accvgpr_read_b32 v26, a176                               // 00000000E130: D3D8401A 180001B0
	v_accvgpr_read_b32 v27, a180                               // 00000000E138: D3D8401B 180001B4
	v_mul_f32_e32 v24, s43, v24                                // 00000000E140: 0A30302B
	v_mul_f32_e32 v25, s43, v25                                // 00000000E144: 0A32322B
	v_mul_f32_e32 v26, s43, v26                                // 00000000E148: 0A34342B
	v_mul_f32_e32 v27, s43, v27                                // 00000000E14C: 0A36362B
	v_cmp_u_f32_e64 s[38:39], v24, v24                         // 00000000E150: D0480026 00023118
	v_add3_u32 v28, v24, v31, 1                                // 00000000E158: D1FF001C 02063F18
	v_cndmask_b32_e64 v20, v28, v30, s[38:39]                  // 00000000E160: D1000014 009A3D1C
	v_cmp_u_f32_e64 s[38:39], v25, v25                         // 00000000E168: D0480026 00023319
	v_add3_u32 v28, v25, v31, 1                                // 00000000E170: D1FF001C 02063F19
	v_cndmask_b32_e64 v21, v28, v30, s[38:39]                  // 00000000E178: D1000015 009A3D1C
	v_perm_b32 v24, v21, v20, s51                              // 00000000E180: D1ED0018 00CE2915
	v_cmp_u_f32_e64 s[38:39], v26, v26                         // 00000000E188: D0480026 0002351A
	v_add3_u32 v28, v26, v31, 1                                // 00000000E190: D1FF001C 02063F1A
	v_cndmask_b32_e64 v20, v28, v30, s[38:39]                  // 00000000E198: D1000014 009A3D1C
	v_cmp_u_f32_e64 s[38:39], v27, v27                         // 00000000E1A0: D0480026 0002371B
	v_add3_u32 v28, v27, v31, 1                                // 00000000E1A8: D1FF001C 02063F1B
	v_cndmask_b32_e64 v21, v28, v30, s[38:39]                  // 00000000E1B0: D1000015 009A3D1C
	v_perm_b32 v25, v21, v20, s51                              // 00000000E1B8: D1ED0019 00CE2915
	ds_write_b64 v5, v[24:25]                                  // 00000000E1C0: D89A0000 00001805
	v_mov_b32_e32 v24, v253                                    // 00000000E1C8: 7E3003FD
	v_accvgpr_read_b32 v25, a173                               // 00000000E1CC: D3D84019 180001AD
	v_accvgpr_read_b32 v26, a177                               // 00000000E1D4: D3D8401A 180001B1
	v_accvgpr_read_b32 v27, a181                               // 00000000E1DC: D3D8401B 180001B5
	v_mul_f32_e32 v24, s43, v24                                // 00000000E1E4: 0A30302B
	v_mul_f32_e32 v25, s43, v25                                // 00000000E1E8: 0A32322B
	v_mul_f32_e32 v26, s43, v26                                // 00000000E1EC: 0A34342B
	v_mul_f32_e32 v27, s43, v27                                // 00000000E1F0: 0A36362B
	v_cmp_u_f32_e64 s[38:39], v24, v24                         // 00000000E1F4: D0480026 00023118
	v_add3_u32 v28, v24, v31, 1                                // 00000000E1FC: D1FF001C 02063F18
	v_cndmask_b32_e64 v20, v28, v30, s[38:39]                  // 00000000E204: D1000014 009A3D1C
	v_cmp_u_f32_e64 s[38:39], v25, v25                         // 00000000E20C: D0480026 00023319
	v_add3_u32 v28, v25, v31, 1                                // 00000000E214: D1FF001C 02063F19
	v_cndmask_b32_e64 v21, v28, v30, s[38:39]                  // 00000000E21C: D1000015 009A3D1C
	v_perm_b32 v24, v21, v20, s51                              // 00000000E224: D1ED0018 00CE2915
	v_cmp_u_f32_e64 s[38:39], v26, v26                         // 00000000E22C: D0480026 0002351A
	v_add3_u32 v28, v26, v31, 1                                // 00000000E234: D1FF001C 02063F1A
	v_cndmask_b32_e64 v20, v28, v30, s[38:39]                  // 00000000E23C: D1000014 009A3D1C
	v_cmp_u_f32_e64 s[38:39], v27, v27                         // 00000000E244: D0480026 0002371B
	v_add3_u32 v28, v27, v31, 1                                // 00000000E24C: D1FF001C 02063F1B
	v_cndmask_b32_e64 v21, v28, v30, s[38:39]                  // 00000000E254: D1000015 009A3D1C
	v_perm_b32 v25, v21, v20, s51                              // 00000000E25C: D1ED0019 00CE2915
	ds_write_b64 v5, v[24:25] offset:1152                      // 00000000E264: D89A0480 00001805
	v_mov_b32_e32 v24, v254                                    // 00000000E26C: 7E3003FE
	v_accvgpr_read_b32 v25, a174                               // 00000000E270: D3D84019 180001AE
	v_accvgpr_read_b32 v26, a178                               // 00000000E278: D3D8401A 180001B2
	v_accvgpr_read_b32 v27, a182                               // 00000000E280: D3D8401B 180001B6
	v_mul_f32_e32 v24, s43, v24                                // 00000000E288: 0A30302B
	v_mul_f32_e32 v25, s43, v25                                // 00000000E28C: 0A32322B
	v_mul_f32_e32 v26, s43, v26                                // 00000000E290: 0A34342B
	v_mul_f32_e32 v27, s43, v27                                // 00000000E294: 0A36362B
	v_cmp_u_f32_e64 s[38:39], v24, v24                         // 00000000E298: D0480026 00023118
	v_add3_u32 v28, v24, v31, 1                                // 00000000E2A0: D1FF001C 02063F18
	v_cndmask_b32_e64 v20, v28, v30, s[38:39]                  // 00000000E2A8: D1000014 009A3D1C
	v_cmp_u_f32_e64 s[38:39], v25, v25                         // 00000000E2B0: D0480026 00023319
	v_add3_u32 v28, v25, v31, 1                                // 00000000E2B8: D1FF001C 02063F19
	v_cndmask_b32_e64 v21, v28, v30, s[38:39]                  // 00000000E2C0: D1000015 009A3D1C
	v_perm_b32 v24, v21, v20, s51                              // 00000000E2C8: D1ED0018 00CE2915
	v_cmp_u_f32_e64 s[38:39], v26, v26                         // 00000000E2D0: D0480026 0002351A
	v_add3_u32 v28, v26, v31, 1                                // 00000000E2D8: D1FF001C 02063F1A
	v_cndmask_b32_e64 v20, v28, v30, s[38:39]                  // 00000000E2E0: D1000014 009A3D1C
	v_cmp_u_f32_e64 s[38:39], v27, v27                         // 00000000E2E8: D0480026 0002371B
	v_add3_u32 v28, v27, v31, 1                                // 00000000E2F0: D1FF001C 02063F1B
	v_cndmask_b32_e64 v21, v28, v30, s[38:39]                  // 00000000E2F8: D1000015 009A3D1C
	v_perm_b32 v25, v21, v20, s51                              // 00000000E300: D1ED0019 00CE2915
	ds_write_b64 v5, v[24:25] offset:144                       // 00000000E308: D89A0090 00001805
	v_mov_b32_e32 v24, v255                                    // 00000000E310: 7E3003FF
	v_accvgpr_read_b32 v25, a175                               // 00000000E314: D3D84019 180001AF
	v_accvgpr_read_b32 v26, a179                               // 00000000E31C: D3D8401A 180001B3
	v_accvgpr_read_b32 v27, a183                               // 00000000E324: D3D8401B 180001B7
	v_mul_f32_e32 v24, s43, v24                                // 00000000E32C: 0A30302B
	v_mul_f32_e32 v25, s43, v25                                // 00000000E330: 0A32322B
	v_mul_f32_e32 v26, s43, v26                                // 00000000E334: 0A34342B
	v_mul_f32_e32 v27, s43, v27                                // 00000000E338: 0A36362B
	v_cmp_u_f32_e64 s[38:39], v24, v24                         // 00000000E33C: D0480026 00023118
	v_add3_u32 v28, v24, v31, 1                                // 00000000E344: D1FF001C 02063F18
	v_cndmask_b32_e64 v20, v28, v30, s[38:39]                  // 00000000E34C: D1000014 009A3D1C
	v_cmp_u_f32_e64 s[38:39], v25, v25                         // 00000000E354: D0480026 00023319
	v_add3_u32 v28, v25, v31, 1                                // 00000000E35C: D1FF001C 02063F19
	v_cndmask_b32_e64 v21, v28, v30, s[38:39]                  // 00000000E364: D1000015 009A3D1C
	v_perm_b32 v24, v21, v20, s51                              // 00000000E36C: D1ED0018 00CE2915
	v_cmp_u_f32_e64 s[38:39], v26, v26                         // 00000000E374: D0480026 0002351A
	v_add3_u32 v28, v26, v31, 1                                // 00000000E37C: D1FF001C 02063F1A
	v_cndmask_b32_e64 v20, v28, v30, s[38:39]                  // 00000000E384: D1000014 009A3D1C
	v_cmp_u_f32_e64 s[38:39], v27, v27                         // 00000000E38C: D0480026 0002371B
	v_add3_u32 v28, v27, v31, 1                                // 00000000E394: D1FF001C 02063F1B
	v_cndmask_b32_e64 v21, v28, v30, s[38:39]                  // 00000000E39C: D1000015 009A3D1C
	v_perm_b32 v25, v21, v20, s51                              // 00000000E3A4: D1ED0019 00CE2915
	ds_write_b64 v5, v[24:25] offset:1296                      // 00000000E3AC: D89A0510 00001805
	v_accvgpr_read_b32 v24, a184                               // 00000000E3B4: D3D84018 180001B8
	v_accvgpr_read_b32 v25, a188                               // 00000000E3BC: D3D84019 180001BC
	v_accvgpr_read_b32 v26, a192                               // 00000000E3C4: D3D8401A 180001C0
	v_accvgpr_read_b32 v27, a196                               // 00000000E3CC: D3D8401B 180001C4
	v_mul_f32_e32 v24, s43, v24                                // 00000000E3D4: 0A30302B
	v_mul_f32_e32 v25, s43, v25                                // 00000000E3D8: 0A32322B
	v_mul_f32_e32 v26, s43, v26                                // 00000000E3DC: 0A34342B
	v_mul_f32_e32 v27, s43, v27                                // 00000000E3E0: 0A36362B
	v_cmp_u_f32_e64 s[38:39], v24, v24                         // 00000000E3E4: D0480026 00023118
	v_add3_u32 v28, v24, v31, 1                                // 00000000E3EC: D1FF001C 02063F18
	v_cndmask_b32_e64 v20, v28, v30, s[38:39]                  // 00000000E3F4: D1000014 009A3D1C
	v_cmp_u_f32_e64 s[38:39], v25, v25                         // 00000000E3FC: D0480026 00023319
	v_add3_u32 v28, v25, v31, 1                                // 00000000E404: D1FF001C 02063F19
	v_cndmask_b32_e64 v21, v28, v30, s[38:39]                  // 00000000E40C: D1000015 009A3D1C
	v_perm_b32 v24, v21, v20, s51                              // 00000000E414: D1ED0018 00CE2915
	v_cmp_u_f32_e64 s[38:39], v26, v26                         // 00000000E41C: D0480026 0002351A
	v_add3_u32 v28, v26, v31, 1                                // 00000000E424: D1FF001C 02063F1A
	v_cndmask_b32_e64 v20, v28, v30, s[38:39]                  // 00000000E42C: D1000014 009A3D1C
	v_cmp_u_f32_e64 s[38:39], v27, v27                         // 00000000E434: D0480026 0002371B
	v_add3_u32 v28, v27, v31, 1                                // 00000000E43C: D1FF001C 02063F1B
	v_cndmask_b32_e64 v21, v28, v30, s[38:39]                  // 00000000E444: D1000015 009A3D1C
	v_perm_b32 v25, v21, v20, s51                              // 00000000E44C: D1ED0019 00CE2915
	ds_write_b64 v5, v[24:25] offset:2304                      // 00000000E454: D89A0900 00001805
	v_accvgpr_read_b32 v24, a185                               // 00000000E45C: D3D84018 180001B9
	v_accvgpr_read_b32 v25, a189                               // 00000000E464: D3D84019 180001BD
	v_accvgpr_read_b32 v26, a193                               // 00000000E46C: D3D8401A 180001C1
	v_accvgpr_read_b32 v27, a197                               // 00000000E474: D3D8401B 180001C5
	v_mul_f32_e32 v24, s43, v24                                // 00000000E47C: 0A30302B
	v_mul_f32_e32 v25, s43, v25                                // 00000000E480: 0A32322B
	v_mul_f32_e32 v26, s43, v26                                // 00000000E484: 0A34342B
	v_mul_f32_e32 v27, s43, v27                                // 00000000E488: 0A36362B
	v_cmp_u_f32_e64 s[38:39], v24, v24                         // 00000000E48C: D0480026 00023118
	v_add3_u32 v28, v24, v31, 1                                // 00000000E494: D1FF001C 02063F18
	v_cndmask_b32_e64 v20, v28, v30, s[38:39]                  // 00000000E49C: D1000014 009A3D1C
	v_cmp_u_f32_e64 s[38:39], v25, v25                         // 00000000E4A4: D0480026 00023319
	v_add3_u32 v28, v25, v31, 1                                // 00000000E4AC: D1FF001C 02063F19
	v_cndmask_b32_e64 v21, v28, v30, s[38:39]                  // 00000000E4B4: D1000015 009A3D1C
	v_perm_b32 v24, v21, v20, s51                              // 00000000E4BC: D1ED0018 00CE2915
	v_cmp_u_f32_e64 s[38:39], v26, v26                         // 00000000E4C4: D0480026 0002351A
	v_add3_u32 v28, v26, v31, 1                                // 00000000E4CC: D1FF001C 02063F1A
	v_cndmask_b32_e64 v20, v28, v30, s[38:39]                  // 00000000E4D4: D1000014 009A3D1C
	v_cmp_u_f32_e64 s[38:39], v27, v27                         // 00000000E4DC: D0480026 0002371B
	v_add3_u32 v28, v27, v31, 1                                // 00000000E4E4: D1FF001C 02063F1B
	v_cndmask_b32_e64 v21, v28, v30, s[38:39]                  // 00000000E4EC: D1000015 009A3D1C
	v_perm_b32 v25, v21, v20, s51                              // 00000000E4F4: D1ED0019 00CE2915
	ds_write_b64 v5, v[24:25] offset:3456                      // 00000000E4FC: D89A0D80 00001805
	v_accvgpr_read_b32 v24, a186                               // 00000000E504: D3D84018 180001BA
	v_accvgpr_read_b32 v25, a190                               // 00000000E50C: D3D84019 180001BE
	v_accvgpr_read_b32 v26, a194                               // 00000000E514: D3D8401A 180001C2
	v_accvgpr_read_b32 v27, a198                               // 00000000E51C: D3D8401B 180001C6
	v_mul_f32_e32 v24, s43, v24                                // 00000000E524: 0A30302B
	v_mul_f32_e32 v25, s43, v25                                // 00000000E528: 0A32322B
	v_mul_f32_e32 v26, s43, v26                                // 00000000E52C: 0A34342B
	v_mul_f32_e32 v27, s43, v27                                // 00000000E530: 0A36362B
	v_cmp_u_f32_e64 s[38:39], v24, v24                         // 00000000E534: D0480026 00023118
	v_add3_u32 v28, v24, v31, 1                                // 00000000E53C: D1FF001C 02063F18
	v_cndmask_b32_e64 v20, v28, v30, s[38:39]                  // 00000000E544: D1000014 009A3D1C
	v_cmp_u_f32_e64 s[38:39], v25, v25                         // 00000000E54C: D0480026 00023319
	v_add3_u32 v28, v25, v31, 1                                // 00000000E554: D1FF001C 02063F19
	v_cndmask_b32_e64 v21, v28, v30, s[38:39]                  // 00000000E55C: D1000015 009A3D1C
	v_perm_b32 v24, v21, v20, s51                              // 00000000E564: D1ED0018 00CE2915
	v_cmp_u_f32_e64 s[38:39], v26, v26                         // 00000000E56C: D0480026 0002351A
	v_add3_u32 v28, v26, v31, 1                                // 00000000E574: D1FF001C 02063F1A
	v_cndmask_b32_e64 v20, v28, v30, s[38:39]                  // 00000000E57C: D1000014 009A3D1C
	v_cmp_u_f32_e64 s[38:39], v27, v27                         // 00000000E584: D0480026 0002371B
	v_add3_u32 v28, v27, v31, 1                                // 00000000E58C: D1FF001C 02063F1B
	v_cndmask_b32_e64 v21, v28, v30, s[38:39]                  // 00000000E594: D1000015 009A3D1C
	v_perm_b32 v25, v21, v20, s51                              // 00000000E59C: D1ED0019 00CE2915
	ds_write_b64 v5, v[24:25] offset:2448                      // 00000000E5A4: D89A0990 00001805
	v_accvgpr_read_b32 v24, a187                               // 00000000E5AC: D3D84018 180001BB
	v_accvgpr_read_b32 v25, a191                               // 00000000E5B4: D3D84019 180001BF
	v_accvgpr_read_b32 v26, a195                               // 00000000E5BC: D3D8401A 180001C3
	v_accvgpr_read_b32 v27, a199                               // 00000000E5C4: D3D8401B 180001C7
	v_mul_f32_e32 v24, s43, v24                                // 00000000E5CC: 0A30302B
	v_mul_f32_e32 v25, s43, v25                                // 00000000E5D0: 0A32322B
	v_mul_f32_e32 v26, s43, v26                                // 00000000E5D4: 0A34342B
	v_mul_f32_e32 v27, s43, v27                                // 00000000E5D8: 0A36362B
	v_cmp_u_f32_e64 s[38:39], v24, v24                         // 00000000E5DC: D0480026 00023118
	v_add3_u32 v28, v24, v31, 1                                // 00000000E5E4: D1FF001C 02063F18
	v_cndmask_b32_e64 v20, v28, v30, s[38:39]                  // 00000000E5EC: D1000014 009A3D1C
	v_cmp_u_f32_e64 s[38:39], v25, v25                         // 00000000E5F4: D0480026 00023319
	v_add3_u32 v28, v25, v31, 1                                // 00000000E5FC: D1FF001C 02063F19
	v_cndmask_b32_e64 v21, v28, v30, s[38:39]                  // 00000000E604: D1000015 009A3D1C
	v_perm_b32 v24, v21, v20, s51                              // 00000000E60C: D1ED0018 00CE2915
	v_cmp_u_f32_e64 s[38:39], v26, v26                         // 00000000E614: D0480026 0002351A
	v_add3_u32 v28, v26, v31, 1                                // 00000000E61C: D1FF001C 02063F1A
	v_cndmask_b32_e64 v20, v28, v30, s[38:39]                  // 00000000E624: D1000014 009A3D1C
	v_cmp_u_f32_e64 s[38:39], v27, v27                         // 00000000E62C: D0480026 0002371B
	v_add3_u32 v28, v27, v31, 1                                // 00000000E634: D1FF001C 02063F1B
	v_cndmask_b32_e64 v21, v28, v30, s[38:39]                  // 00000000E63C: D1000015 009A3D1C
	v_perm_b32 v25, v21, v20, s51                              // 00000000E644: D1ED0019 00CE2915
	ds_write_b64 v5, v[24:25] offset:3600                      // 00000000E64C: D89A0E10 00001805
	s_waitcnt lgkmcnt(4)                                       // 00000000E654: BF8CC47F
	ds_read_b64 v[56:57], v4                                   // 00000000E658: D8EC0000 38000004
	ds_read_b64 v[60:61], v4 offset:64                         // 00000000E660: D8EC0040 3C000004
	ds_read_b64 v[58:59], v4 offset:1152                       // 00000000E668: D8EC0480 3A000004
	ds_read_b64 v[62:63], v4 offset:1216                       // 00000000E670: D8EC04C0 3E000004
	s_waitcnt lgkmcnt(4)                                       // 00000000E678: BF8CC47F
	ds_read_b64 v[64:65], v4 offset:2304                       // 00000000E67C: D8EC0900 40000004
	ds_read_b64 v[68:69], v4 offset:2368                       // 00000000E684: D8EC0940 44000004
	ds_read_b64 v[66:67], v4 offset:3456                       // 00000000E68C: D8EC0D80 42000004
	ds_read_b64 v[70:71], v4 offset:3520                       // 00000000E694: D8EC0DC0 46000004
	s_waitcnt lgkmcnt(0)                                       // 00000000E69C: BF8CC07F
	v_mov_b32_e32 v18, v19                                     // 00000000E6A0: 7E240313
	buffer_store_dwordx4 v[56:59], v18, s[8:11], 0 offen offset:768// 00000000E6A4: E07C1300 80023812
	buffer_store_dwordx4 v[64:67], v18, s[8:11], 0 offen offset:896// 00000000E6AC: E07C1380 80024012
	v_add_u32_e32 v18, 0x2000, v18                             // 00000000E6B4: 682424FF 00002000
	buffer_store_dwordx4 v[60:63], v18, s[8:11], 0 offen offset:768// 00000000E6BC: E07C1300 80023C12
	buffer_store_dwordx4 v[68:71], v18, s[8:11], 0 offen offset:896// 00000000E6C4: E07C1380 80024412
	v_add_u32_e32 v18, 0x2000, v18                             // 00000000E6CC: 682424FF 00002000
	s_branch label_3565                                        // 00000000E6D4: BF82046F

000000000000e6d8 <label_30F6>:
	s_mul_i32 s76, s67, s75                                    // 00000000E6D8: 924C4B43
	s_add_u32 s56, s80, s79                                    // 00000000E6DC: 80384F50
	v_mov_b32_e32 v20, s56                                     // 00000000E6E0: 7E280238
	v_mul_lo_u32 v21, s76, v20                                 // 00000000E6E4: D2850015 0002284C
	v_mul_hi_u32 v22, s76, v20                                 // 00000000E6EC: D2860016 0002284C
	s_nop 2                                                    // 00000000E6F4: BF800002
	v_readfirstlane_b32 s56, v21                               // 00000000E6F8: 7E700515
	v_readfirstlane_b32 s57, v22                               // 00000000E6FC: 7E720516
	s_nop 4                                                    // 00000000E700: BF800004
	s_add_u32 s8, s56, s8                                      // 00000000E704: 80080838
	s_addc_u32 s9, s57, s9                                     // 00000000E708: 82090939
	s_sub_u32 s56, s81, s80                                    // 00000000E70C: 80B85051
	s_mul_i32 s56, s56, s76                                    // 00000000E710: 92384C38
	s_mov_b32 s10, s56                                         // 00000000E714: BE8A0038
	v_and_b32_e32 v20, 15, v0                                  // 00000000E718: 2628008F
	v_lshlrev_b32_e32 v18, 4, v20                              // 00000000E71C: 24242884
	v_lshrrev_b32_e32 v20, 4, v0                               // 00000000E720: 20280084
	v_mul_i32_i24_e32 v20, 0x800, v20                          // 00000000E724: 0C2828FF 00000800
	v_add_u32_e32 v18, v18, v20                                // 00000000E72C: 68242912
	s_mul_i32 s56, s4, s75                                     // 00000000E730: 92384B04
	v_add_u32_e64 v18, v18, s56                                // 00000000E734: D1340012 00007112
	s_mul_i32 s56, s7, 0x8000                                  // 00000000E73C: 9238FF07 00008000
	v_add_u32_e64 v18, v18, s56                                // 00000000E744: D1340012 00007112
	v_mov_b32_e32 v19, v18                                     // 00000000E74C: 7E260312
	s_mul_i32 s57, 4, s65                                      // 00000000E750: 92394184
	s_mul_i32 s77, s67, s57                                    // 00000000E754: 924D3943
	s_add_u32 s56, s80, s79                                    // 00000000E758: 80384F50
	s_mul_i32 s56, s56, s77                                    // 00000000E75C: 92384D38
	s_add_u32 s12, s56, s12                                    // 00000000E760: 800C0C38
	s_addc_u32 s13, 0, s13                                     // 00000000E764: 820D0D80
	s_sub_u32 s56, s81, s80                                    // 00000000E768: 80B85051
	s_mul_i32 s56, s56, s77                                    // 00000000E76C: 92384D38
	s_mov_b32 s14, s56                                         // 00000000E770: BE8E0038
	v_and_b32_e32 v26, 15, v0                                  // 00000000E774: 2634008F
	v_lshlrev_b32_e32 v26, 2, v26                              // 00000000E778: 24343482
	s_mul_i32 s56, s4, s57                                     // 00000000E77C: 92383904
	v_add_u32_e64 v26, v26, s56                                // 00000000E780: D134001A 0000711A
	s_mul_i32 s56, s7, 64                                      // 00000000E788: 9238C007
	v_add_u32_e64 v26, v26, s56                                // 00000000E78C: D134001A 0000711A
	s_waitcnt vmcnt(0) lgkmcnt(0)                              // 00000000E794: BF8C0070
	s_barrier                                                  // 00000000E798: BF8A0000
	v_lshlrev_b32_e32 v5, 2, v0                                // 00000000E79C: 240A0082
	s_mul_i32 s56, s7, 0x840                                   // 00000000E7A0: 9238FF07 00000840
	v_add_u32_e32 v5, s56, v5                                  // 00000000E7A8: 680A0A38
	v_lshlrev_b32_e32 v5, 2, v5                                // 00000000E7AC: 240A0A82
	v_lshrrev_b32_e32 v20, 4, v0                               // 00000000E7B0: 20280084
	v_mul_i32_i24_e32 v4, 4, v20                               // 00000000E7B4: 0C082884
	v_and_b32_e32 v20, 3, v0                                   // 00000000E7B8: 26280083
	v_mul_i32_i24_e32 v20, 0x108, v20                          // 00000000E7BC: 0C2828FF 00000108
	v_add_u32_e32 v4, v20, v4                                  // 00000000E7C4: 68080914
	v_and_b32_e32 v20, 15, v0                                  // 00000000E7C8: 2628008F
	v_lshrrev_b32_e32 v20, 2, v20                              // 00000000E7CC: 20282882
	v_mul_i32_i24_e32 v20, 64, v20                             // 00000000E7D0: 0C2828C0
	v_add_u32_e32 v4, v20, v4                                  // 00000000E7D4: 68080914
	s_mul_i32 s56, s7, 0x840                                   // 00000000E7D8: 9238FF07 00000840
	v_add_u32_e32 v4, s56, v4                                  // 00000000E7E0: 68080838
	v_lshlrev_b32_e32 v4, 2, v4                                // 00000000E7E4: 24080882
	s_mov_b32 s56, 0                                           // 00000000E7E8: BEB80080
	v_add_u32_e64 v19, v19, s56                                // 00000000E7EC: D1340013 00007113
	v_mov_b32_e32 v20, v56                                     // 00000000E7F4: 7E280338
	v_mov_b32_e32 v21, v60                                     // 00000000E7F8: 7E2A033C
	v_mov_b32_e32 v22, v64                                     // 00000000E7FC: 7E2C0340
	v_mov_b32_e32 v23, v68                                     // 00000000E800: 7E2E0344
	v_mul_f32_e32 v20, s43, v20                                // 00000000E804: 0A28282B
	v_mul_f32_e32 v21, s43, v21                                // 00000000E808: 0A2A2A2B
	v_mul_f32_e32 v22, s43, v22                                // 00000000E80C: 0A2C2C2B
	v_mul_f32_e32 v23, s43, v23                                // 00000000E810: 0A2E2E2B
	ds_write_b128 v5, v[20:23]                                 // 00000000E814: D9BE0000 00001405
	v_mov_b32_e32 v20, v57                                     // 00000000E81C: 7E280339
	v_mov_b32_e32 v21, v61                                     // 00000000E820: 7E2A033D
	v_mov_b32_e32 v22, v65                                     // 00000000E824: 7E2C0341
	v_mov_b32_e32 v23, v69                                     // 00000000E828: 7E2E0345
	v_mul_f32_e32 v20, s43, v20                                // 00000000E82C: 0A28282B
	v_mul_f32_e32 v21, s43, v21                                // 00000000E830: 0A2A2A2B
	v_mul_f32_e32 v22, s43, v22                                // 00000000E834: 0A2C2C2B
	v_mul_f32_e32 v23, s43, v23                                // 00000000E838: 0A2E2E2B
	ds_write_b128 v5, v[20:23] offset:1056                     // 00000000E83C: D9BE0420 00001405
	v_mov_b32_e32 v20, v58                                     // 00000000E844: 7E28033A
	v_mov_b32_e32 v21, v62                                     // 00000000E848: 7E2A033E
	v_mov_b32_e32 v22, v66                                     // 00000000E84C: 7E2C0342
	v_mov_b32_e32 v23, v70                                     // 00000000E850: 7E2E0346
	v_mul_f32_e32 v20, s43, v20                                // 00000000E854: 0A28282B
	v_mul_f32_e32 v21, s43, v21                                // 00000000E858: 0A2A2A2B
	v_mul_f32_e32 v22, s43, v22                                // 00000000E85C: 0A2C2C2B
	v_mul_f32_e32 v23, s43, v23                                // 00000000E860: 0A2E2E2B
	ds_write_b128 v5, v[20:23] offset:2112                     // 00000000E864: D9BE0840 00001405
	v_mov_b32_e32 v20, v59                                     // 00000000E86C: 7E28033B
	v_mov_b32_e32 v21, v63                                     // 00000000E870: 7E2A033F
	v_mov_b32_e32 v22, v67                                     // 00000000E874: 7E2C0343
	v_mov_b32_e32 v23, v71                                     // 00000000E878: 7E2E0347
	v_mul_f32_e32 v20, s43, v20                                // 00000000E87C: 0A28282B
	v_mul_f32_e32 v21, s43, v21                                // 00000000E880: 0A2A2A2B
	v_mul_f32_e32 v22, s43, v22                                // 00000000E884: 0A2C2C2B
	v_mul_f32_e32 v23, s43, v23                                // 00000000E888: 0A2E2E2B
	ds_write_b128 v5, v[20:23] offset:3168                     // 00000000E88C: D9BE0C60 00001405
	v_mov_b32_e32 v20, v72                                     // 00000000E894: 7E280348
	v_mov_b32_e32 v21, v76                                     // 00000000E898: 7E2A034C
	v_mov_b32_e32 v22, v80                                     // 00000000E89C: 7E2C0350
	v_mov_b32_e32 v23, v84                                     // 00000000E8A0: 7E2E0354
	v_mul_f32_e32 v20, s43, v20                                // 00000000E8A4: 0A28282B
	v_mul_f32_e32 v21, s43, v21                                // 00000000E8A8: 0A2A2A2B
	v_mul_f32_e32 v22, s43, v22                                // 00000000E8AC: 0A2C2C2B
	v_mul_f32_e32 v23, s43, v23                                // 00000000E8B0: 0A2E2E2B
	ds_write_b128 v5, v[20:23] offset:4224                     // 00000000E8B4: D9BE1080 00001405
	v_mov_b32_e32 v20, v73                                     // 00000000E8BC: 7E280349
	v_mov_b32_e32 v21, v77                                     // 00000000E8C0: 7E2A034D
	v_mov_b32_e32 v22, v81                                     // 00000000E8C4: 7E2C0351
	v_mov_b32_e32 v23, v85                                     // 00000000E8C8: 7E2E0355
	v_mul_f32_e32 v20, s43, v20                                // 00000000E8CC: 0A28282B
	v_mul_f32_e32 v21, s43, v21                                // 00000000E8D0: 0A2A2A2B
	v_mul_f32_e32 v22, s43, v22                                // 00000000E8D4: 0A2C2C2B
	v_mul_f32_e32 v23, s43, v23                                // 00000000E8D8: 0A2E2E2B
	ds_write_b128 v5, v[20:23] offset:5280                     // 00000000E8DC: D9BE14A0 00001405
	v_mov_b32_e32 v20, v74                                     // 00000000E8E4: 7E28034A
	v_mov_b32_e32 v21, v78                                     // 00000000E8E8: 7E2A034E
	v_mov_b32_e32 v22, v82                                     // 00000000E8EC: 7E2C0352
	v_mov_b32_e32 v23, v86                                     // 00000000E8F0: 7E2E0356
	v_mul_f32_e32 v20, s43, v20                                // 00000000E8F4: 0A28282B
	v_mul_f32_e32 v21, s43, v21                                // 00000000E8F8: 0A2A2A2B
	v_mul_f32_e32 v22, s43, v22                                // 00000000E8FC: 0A2C2C2B
	v_mul_f32_e32 v23, s43, v23                                // 00000000E900: 0A2E2E2B
	ds_write_b128 v5, v[20:23] offset:6336                     // 00000000E904: D9BE18C0 00001405
	v_mov_b32_e32 v20, v75                                     // 00000000E90C: 7E28034B
	v_mov_b32_e32 v21, v79                                     // 00000000E910: 7E2A034F
	v_mov_b32_e32 v22, v83                                     // 00000000E914: 7E2C0353
	v_mov_b32_e32 v23, v87                                     // 00000000E918: 7E2E0357
	v_mul_f32_e32 v20, s43, v20                                // 00000000E91C: 0A28282B
	v_mul_f32_e32 v21, s43, v21                                // 00000000E920: 0A2A2A2B
	v_mul_f32_e32 v22, s43, v22                                // 00000000E924: 0A2C2C2B
	v_mul_f32_e32 v23, s43, v23                                // 00000000E928: 0A2E2E2B
	ds_write_b128 v5, v[20:23] offset:7392                     // 00000000E92C: D9BE1CE0 00001405
	s_waitcnt lgkmcnt(4)                                       // 00000000E934: BF8CC47F
	ds_read_b128 v[56:59], v4                                  // 00000000E938: D9FE0000 38000004
	ds_read_b128 v[60:63], v4 offset:64                        // 00000000E940: D9FE0040 3C000004
	ds_read_b128 v[64:67], v4 offset:128                       // 00000000E948: D9FE0080 40000004
	ds_read_b128 v[68:71], v4 offset:192                       // 00000000E950: D9FE00C0 44000004
	s_waitcnt lgkmcnt(4)                                       // 00000000E958: BF8CC47F
	ds_read_b128 v[72:75], v4 offset:4224                      // 00000000E95C: D9FE1080 48000004
	ds_read_b128 v[76:79], v4 offset:4288                      // 00000000E964: D9FE10C0 4C000004
	ds_read_b128 v[80:83], v4 offset:4352                      // 00000000E96C: D9FE1100 50000004
	ds_read_b128 v[84:87], v4 offset:4416                      // 00000000E974: D9FE1140 54000004
	s_waitcnt lgkmcnt(0)                                       // 00000000E97C: BF8CC07F
	v_mov_b32_e32 v18, v19                                     // 00000000E980: 7E240313
	buffer_store_dwordx4 v[56:59], v18, s[8:11], 0 offen       // 00000000E984: E07C1000 80023812
	buffer_store_dwordx4 v[72:75], v18, s[8:11], 0 offen offset:256// 00000000E98C: E07C1100 80024812
	v_add_u32_e32 v18, 0x2000, v18                             // 00000000E994: 682424FF 00002000
	buffer_store_dwordx4 v[60:63], v18, s[8:11], 0 offen       // 00000000E99C: E07C1000 80023C12
	buffer_store_dwordx4 v[76:79], v18, s[8:11], 0 offen offset:256// 00000000E9A4: E07C1100 80024C12
	v_add_u32_e32 v18, 0x2000, v18                             // 00000000E9AC: 682424FF 00002000
	buffer_store_dwordx4 v[64:67], v18, s[8:11], 0 offen       // 00000000E9B4: E07C1000 80024012
	buffer_store_dwordx4 v[80:83], v18, s[8:11], 0 offen offset:256// 00000000E9BC: E07C1100 80025012
	v_add_u32_e32 v18, 0x2000, v18                             // 00000000E9C4: 682424FF 00002000
	buffer_store_dwordx4 v[68:71], v18, s[8:11], 0 offen       // 00000000E9CC: E07C1000 80024412
	buffer_store_dwordx4 v[84:87], v18, s[8:11], 0 offen offset:256// 00000000E9D4: E07C1100 80025412
	v_add_u32_e32 v18, 0x2000, v18                             // 00000000E9DC: 682424FF 00002000
	v_mov_b32_e32 v20, v88                                     // 00000000E9E4: 7E280358
	v_mov_b32_e32 v21, v92                                     // 00000000E9E8: 7E2A035C
	v_mov_b32_e32 v22, v96                                     // 00000000E9EC: 7E2C0360
	v_mov_b32_e32 v23, v100                                    // 00000000E9F0: 7E2E0364
	v_mul_f32_e32 v20, s43, v20                                // 00000000E9F4: 0A28282B
	v_mul_f32_e32 v21, s43, v21                                // 00000000E9F8: 0A2A2A2B
	v_mul_f32_e32 v22, s43, v22                                // 00000000E9FC: 0A2C2C2B
	v_mul_f32_e32 v23, s43, v23                                // 00000000EA00: 0A2E2E2B
	ds_write_b128 v5, v[20:23]                                 // 00000000EA04: D9BE0000 00001405
	v_mov_b32_e32 v20, v89                                     // 00000000EA0C: 7E280359
	v_mov_b32_e32 v21, v93                                     // 00000000EA10: 7E2A035D
	v_mov_b32_e32 v22, v97                                     // 00000000EA14: 7E2C0361
	v_mov_b32_e32 v23, v101                                    // 00000000EA18: 7E2E0365
	v_mul_f32_e32 v20, s43, v20                                // 00000000EA1C: 0A28282B
	v_mul_f32_e32 v21, s43, v21                                // 00000000EA20: 0A2A2A2B
	v_mul_f32_e32 v22, s43, v22                                // 00000000EA24: 0A2C2C2B
	v_mul_f32_e32 v23, s43, v23                                // 00000000EA28: 0A2E2E2B
	ds_write_b128 v5, v[20:23] offset:1056                     // 00000000EA2C: D9BE0420 00001405
	v_mov_b32_e32 v20, v90                                     // 00000000EA34: 7E28035A
	v_mov_b32_e32 v21, v94                                     // 00000000EA38: 7E2A035E
	v_mov_b32_e32 v22, v98                                     // 00000000EA3C: 7E2C0362
	v_mov_b32_e32 v23, v102                                    // 00000000EA40: 7E2E0366
	v_mul_f32_e32 v20, s43, v20                                // 00000000EA44: 0A28282B
	v_mul_f32_e32 v21, s43, v21                                // 00000000EA48: 0A2A2A2B
	v_mul_f32_e32 v22, s43, v22                                // 00000000EA4C: 0A2C2C2B
	v_mul_f32_e32 v23, s43, v23                                // 00000000EA50: 0A2E2E2B
	ds_write_b128 v5, v[20:23] offset:2112                     // 00000000EA54: D9BE0840 00001405
	v_mov_b32_e32 v20, v91                                     // 00000000EA5C: 7E28035B
	v_mov_b32_e32 v21, v95                                     // 00000000EA60: 7E2A035F
	v_mov_b32_e32 v22, v99                                     // 00000000EA64: 7E2C0363
	v_mov_b32_e32 v23, v103                                    // 00000000EA68: 7E2E0367
	v_mul_f32_e32 v20, s43, v20                                // 00000000EA6C: 0A28282B
	v_mul_f32_e32 v21, s43, v21                                // 00000000EA70: 0A2A2A2B
	v_mul_f32_e32 v22, s43, v22                                // 00000000EA74: 0A2C2C2B
	v_mul_f32_e32 v23, s43, v23                                // 00000000EA78: 0A2E2E2B
	ds_write_b128 v5, v[20:23] offset:3168                     // 00000000EA7C: D9BE0C60 00001405
	v_mov_b32_e32 v20, v104                                    // 00000000EA84: 7E280368
	v_mov_b32_e32 v21, v108                                    // 00000000EA88: 7E2A036C
	v_mov_b32_e32 v22, v112                                    // 00000000EA8C: 7E2C0370
	v_mov_b32_e32 v23, v116                                    // 00000000EA90: 7E2E0374
	v_mul_f32_e32 v20, s43, v20                                // 00000000EA94: 0A28282B
	v_mul_f32_e32 v21, s43, v21                                // 00000000EA98: 0A2A2A2B
	v_mul_f32_e32 v22, s43, v22                                // 00000000EA9C: 0A2C2C2B
	v_mul_f32_e32 v23, s43, v23                                // 00000000EAA0: 0A2E2E2B
	ds_write_b128 v5, v[20:23] offset:4224                     // 00000000EAA4: D9BE1080 00001405
	v_mov_b32_e32 v20, v105                                    // 00000000EAAC: 7E280369
	v_mov_b32_e32 v21, v109                                    // 00000000EAB0: 7E2A036D
	v_mov_b32_e32 v22, v113                                    // 00000000EAB4: 7E2C0371
	v_mov_b32_e32 v23, v117                                    // 00000000EAB8: 7E2E0375
	v_mul_f32_e32 v20, s43, v20                                // 00000000EABC: 0A28282B
	v_mul_f32_e32 v21, s43, v21                                // 00000000EAC0: 0A2A2A2B
	v_mul_f32_e32 v22, s43, v22                                // 00000000EAC4: 0A2C2C2B
	v_mul_f32_e32 v23, s43, v23                                // 00000000EAC8: 0A2E2E2B
	ds_write_b128 v5, v[20:23] offset:5280                     // 00000000EACC: D9BE14A0 00001405
	v_mov_b32_e32 v20, v106                                    // 00000000EAD4: 7E28036A
	v_mov_b32_e32 v21, v110                                    // 00000000EAD8: 7E2A036E
	v_mov_b32_e32 v22, v114                                    // 00000000EADC: 7E2C0372
	v_mov_b32_e32 v23, v118                                    // 00000000EAE0: 7E2E0376
	v_mul_f32_e32 v20, s43, v20                                // 00000000EAE4: 0A28282B
	v_mul_f32_e32 v21, s43, v21                                // 00000000EAE8: 0A2A2A2B
	v_mul_f32_e32 v22, s43, v22                                // 00000000EAEC: 0A2C2C2B
	v_mul_f32_e32 v23, s43, v23                                // 00000000EAF0: 0A2E2E2B
	ds_write_b128 v5, v[20:23] offset:6336                     // 00000000EAF4: D9BE18C0 00001405
	v_mov_b32_e32 v20, v107                                    // 00000000EAFC: 7E28036B
	v_mov_b32_e32 v21, v111                                    // 00000000EB00: 7E2A036F
	v_mov_b32_e32 v22, v115                                    // 00000000EB04: 7E2C0373
	v_mov_b32_e32 v23, v119                                    // 00000000EB08: 7E2E0377
	v_mul_f32_e32 v20, s43, v20                                // 00000000EB0C: 0A28282B
	v_mul_f32_e32 v21, s43, v21                                // 00000000EB10: 0A2A2A2B
	v_mul_f32_e32 v22, s43, v22                                // 00000000EB14: 0A2C2C2B
	v_mul_f32_e32 v23, s43, v23                                // 00000000EB18: 0A2E2E2B
	ds_write_b128 v5, v[20:23] offset:7392                     // 00000000EB1C: D9BE1CE0 00001405
	s_waitcnt lgkmcnt(4)                                       // 00000000EB24: BF8CC47F
	ds_read_b128 v[56:59], v4                                  // 00000000EB28: D9FE0000 38000004
	ds_read_b128 v[60:63], v4 offset:64                        // 00000000EB30: D9FE0040 3C000004
	ds_read_b128 v[64:67], v4 offset:128                       // 00000000EB38: D9FE0080 40000004
	ds_read_b128 v[68:71], v4 offset:192                       // 00000000EB40: D9FE00C0 44000004
	s_waitcnt lgkmcnt(4)                                       // 00000000EB48: BF8CC47F
	ds_read_b128 v[72:75], v4 offset:4224                      // 00000000EB4C: D9FE1080 48000004
	ds_read_b128 v[76:79], v4 offset:4288                      // 00000000EB54: D9FE10C0 4C000004
	ds_read_b128 v[80:83], v4 offset:4352                      // 00000000EB5C: D9FE1100 50000004
	ds_read_b128 v[84:87], v4 offset:4416                      // 00000000EB64: D9FE1140 54000004
	s_waitcnt lgkmcnt(0)                                       // 00000000EB6C: BF8CC07F
	v_mov_b32_e32 v18, v19                                     // 00000000EB70: 7E240313
	buffer_store_dwordx4 v[56:59], v18, s[8:11], 0 offen offset:512// 00000000EB74: E07C1200 80023812
	buffer_store_dwordx4 v[72:75], v18, s[8:11], 0 offen offset:768// 00000000EB7C: E07C1300 80024812
	v_add_u32_e32 v18, 0x2000, v18                             // 00000000EB84: 682424FF 00002000
	buffer_store_dwordx4 v[60:63], v18, s[8:11], 0 offen offset:512// 00000000EB8C: E07C1200 80023C12
	buffer_store_dwordx4 v[76:79], v18, s[8:11], 0 offen offset:768// 00000000EB94: E07C1300 80024C12
	v_add_u32_e32 v18, 0x2000, v18                             // 00000000EB9C: 682424FF 00002000
	buffer_store_dwordx4 v[64:67], v18, s[8:11], 0 offen offset:512// 00000000EBA4: E07C1200 80024012
	buffer_store_dwordx4 v[80:83], v18, s[8:11], 0 offen offset:768// 00000000EBAC: E07C1300 80025012
	v_add_u32_e32 v18, 0x2000, v18                             // 00000000EBB4: 682424FF 00002000
	buffer_store_dwordx4 v[68:71], v18, s[8:11], 0 offen offset:512// 00000000EBBC: E07C1200 80024412
	buffer_store_dwordx4 v[84:87], v18, s[8:11], 0 offen offset:768// 00000000EBC4: E07C1300 80025412
	v_add_u32_e32 v18, 0x2000, v18                             // 00000000EBCC: 682424FF 00002000
	v_mov_b32_e32 v20, v120                                    // 00000000EBD4: 7E280378
	v_mov_b32_e32 v21, v124                                    // 00000000EBD8: 7E2A037C
	v_mov_b32_e32 v22, v128                                    // 00000000EBDC: 7E2C0380
	v_mov_b32_e32 v23, v132                                    // 00000000EBE0: 7E2E0384
	v_mul_f32_e32 v20, s43, v20                                // 00000000EBE4: 0A28282B
	v_mul_f32_e32 v21, s43, v21                                // 00000000EBE8: 0A2A2A2B
	v_mul_f32_e32 v22, s43, v22                                // 00000000EBEC: 0A2C2C2B
	v_mul_f32_e32 v23, s43, v23                                // 00000000EBF0: 0A2E2E2B
	ds_write_b128 v5, v[20:23]                                 // 00000000EBF4: D9BE0000 00001405
	v_mov_b32_e32 v20, v121                                    // 00000000EBFC: 7E280379
	v_mov_b32_e32 v21, v125                                    // 00000000EC00: 7E2A037D
	v_mov_b32_e32 v22, v129                                    // 00000000EC04: 7E2C0381
	v_mov_b32_e32 v23, v133                                    // 00000000EC08: 7E2E0385
	v_mul_f32_e32 v20, s43, v20                                // 00000000EC0C: 0A28282B
	v_mul_f32_e32 v21, s43, v21                                // 00000000EC10: 0A2A2A2B
	v_mul_f32_e32 v22, s43, v22                                // 00000000EC14: 0A2C2C2B
	v_mul_f32_e32 v23, s43, v23                                // 00000000EC18: 0A2E2E2B
	ds_write_b128 v5, v[20:23] offset:1056                     // 00000000EC1C: D9BE0420 00001405
	v_mov_b32_e32 v20, v122                                    // 00000000EC24: 7E28037A
	v_mov_b32_e32 v21, v126                                    // 00000000EC28: 7E2A037E
	v_mov_b32_e32 v22, v130                                    // 00000000EC2C: 7E2C0382
	v_mov_b32_e32 v23, v134                                    // 00000000EC30: 7E2E0386
	v_mul_f32_e32 v20, s43, v20                                // 00000000EC34: 0A28282B
	v_mul_f32_e32 v21, s43, v21                                // 00000000EC38: 0A2A2A2B
	v_mul_f32_e32 v22, s43, v22                                // 00000000EC3C: 0A2C2C2B
	v_mul_f32_e32 v23, s43, v23                                // 00000000EC40: 0A2E2E2B
	ds_write_b128 v5, v[20:23] offset:2112                     // 00000000EC44: D9BE0840 00001405
	v_mov_b32_e32 v20, v123                                    // 00000000EC4C: 7E28037B
	v_mov_b32_e32 v21, v127                                    // 00000000EC50: 7E2A037F
	v_mov_b32_e32 v22, v131                                    // 00000000EC54: 7E2C0383
	v_mov_b32_e32 v23, v135                                    // 00000000EC58: 7E2E0387
	v_mul_f32_e32 v20, s43, v20                                // 00000000EC5C: 0A28282B
	v_mul_f32_e32 v21, s43, v21                                // 00000000EC60: 0A2A2A2B
	v_mul_f32_e32 v22, s43, v22                                // 00000000EC64: 0A2C2C2B
	v_mul_f32_e32 v23, s43, v23                                // 00000000EC68: 0A2E2E2B
	ds_write_b128 v5, v[20:23] offset:3168                     // 00000000EC6C: D9BE0C60 00001405
	v_mov_b32_e32 v20, v136                                    // 00000000EC74: 7E280388
	v_mov_b32_e32 v21, v140                                    // 00000000EC78: 7E2A038C
	v_mov_b32_e32 v22, v144                                    // 00000000EC7C: 7E2C0390
	v_mov_b32_e32 v23, v148                                    // 00000000EC80: 7E2E0394
	v_mul_f32_e32 v20, s43, v20                                // 00000000EC84: 0A28282B
	v_mul_f32_e32 v21, s43, v21                                // 00000000EC88: 0A2A2A2B
	v_mul_f32_e32 v22, s43, v22                                // 00000000EC8C: 0A2C2C2B
	v_mul_f32_e32 v23, s43, v23                                // 00000000EC90: 0A2E2E2B
	ds_write_b128 v5, v[20:23] offset:4224                     // 00000000EC94: D9BE1080 00001405
	v_mov_b32_e32 v20, v137                                    // 00000000EC9C: 7E280389
	v_mov_b32_e32 v21, v141                                    // 00000000ECA0: 7E2A038D
	v_mov_b32_e32 v22, v145                                    // 00000000ECA4: 7E2C0391
	v_mov_b32_e32 v23, v149                                    // 00000000ECA8: 7E2E0395
	v_mul_f32_e32 v20, s43, v20                                // 00000000ECAC: 0A28282B
	v_mul_f32_e32 v21, s43, v21                                // 00000000ECB0: 0A2A2A2B
	v_mul_f32_e32 v22, s43, v22                                // 00000000ECB4: 0A2C2C2B
	v_mul_f32_e32 v23, s43, v23                                // 00000000ECB8: 0A2E2E2B
	ds_write_b128 v5, v[20:23] offset:5280                     // 00000000ECBC: D9BE14A0 00001405
	v_mov_b32_e32 v20, v138                                    // 00000000ECC4: 7E28038A
	v_mov_b32_e32 v21, v142                                    // 00000000ECC8: 7E2A038E
	v_mov_b32_e32 v22, v146                                    // 00000000ECCC: 7E2C0392
	v_mov_b32_e32 v23, v150                                    // 00000000ECD0: 7E2E0396
	v_mul_f32_e32 v20, s43, v20                                // 00000000ECD4: 0A28282B
	v_mul_f32_e32 v21, s43, v21                                // 00000000ECD8: 0A2A2A2B
	v_mul_f32_e32 v22, s43, v22                                // 00000000ECDC: 0A2C2C2B
	v_mul_f32_e32 v23, s43, v23                                // 00000000ECE0: 0A2E2E2B
	ds_write_b128 v5, v[20:23] offset:6336                     // 00000000ECE4: D9BE18C0 00001405
	v_mov_b32_e32 v20, v139                                    // 00000000ECEC: 7E28038B
	v_mov_b32_e32 v21, v143                                    // 00000000ECF0: 7E2A038F
	v_mov_b32_e32 v22, v147                                    // 00000000ECF4: 7E2C0393
	v_mov_b32_e32 v23, v151                                    // 00000000ECF8: 7E2E0397
	v_mul_f32_e32 v20, s43, v20                                // 00000000ECFC: 0A28282B
	v_mul_f32_e32 v21, s43, v21                                // 00000000ED00: 0A2A2A2B
	v_mul_f32_e32 v22, s43, v22                                // 00000000ED04: 0A2C2C2B
	v_mul_f32_e32 v23, s43, v23                                // 00000000ED08: 0A2E2E2B
	ds_write_b128 v5, v[20:23] offset:7392                     // 00000000ED0C: D9BE1CE0 00001405
	s_waitcnt lgkmcnt(4)                                       // 00000000ED14: BF8CC47F
	ds_read_b128 v[56:59], v4                                  // 00000000ED18: D9FE0000 38000004
	ds_read_b128 v[60:63], v4 offset:64                        // 00000000ED20: D9FE0040 3C000004
	ds_read_b128 v[64:67], v4 offset:128                       // 00000000ED28: D9FE0080 40000004
	ds_read_b128 v[68:71], v4 offset:192                       // 00000000ED30: D9FE00C0 44000004
	s_waitcnt lgkmcnt(4)                                       // 00000000ED38: BF8CC47F
	ds_read_b128 v[72:75], v4 offset:4224                      // 00000000ED3C: D9FE1080 48000004
	ds_read_b128 v[76:79], v4 offset:4288                      // 00000000ED44: D9FE10C0 4C000004
	ds_read_b128 v[80:83], v4 offset:4352                      // 00000000ED4C: D9FE1100 50000004
	ds_read_b128 v[84:87], v4 offset:4416                      // 00000000ED54: D9FE1140 54000004
	s_waitcnt lgkmcnt(0)                                       // 00000000ED5C: BF8CC07F
	v_mov_b32_e32 v18, v19                                     // 00000000ED60: 7E240313
	buffer_store_dwordx4 v[56:59], v18, s[8:11], 0 offen offset:1024// 00000000ED64: E07C1400 80023812
	buffer_store_dwordx4 v[72:75], v18, s[8:11], 0 offen offset:1280// 00000000ED6C: E07C1500 80024812
	v_add_u32_e32 v18, 0x2000, v18                             // 00000000ED74: 682424FF 00002000
	buffer_store_dwordx4 v[60:63], v18, s[8:11], 0 offen offset:1024// 00000000ED7C: E07C1400 80023C12
	buffer_store_dwordx4 v[76:79], v18, s[8:11], 0 offen offset:1280// 00000000ED84: E07C1500 80024C12
	v_add_u32_e32 v18, 0x2000, v18                             // 00000000ED8C: 682424FF 00002000
	buffer_store_dwordx4 v[64:67], v18, s[8:11], 0 offen offset:1024// 00000000ED94: E07C1400 80024012
	buffer_store_dwordx4 v[80:83], v18, s[8:11], 0 offen offset:1280// 00000000ED9C: E07C1500 80025012
	v_add_u32_e32 v18, 0x2000, v18                             // 00000000EDA4: 682424FF 00002000
	buffer_store_dwordx4 v[68:71], v18, s[8:11], 0 offen offset:1024// 00000000EDAC: E07C1400 80024412
	buffer_store_dwordx4 v[84:87], v18, s[8:11], 0 offen offset:1280// 00000000EDB4: E07C1500 80025412
	v_add_u32_e32 v18, 0x2000, v18                             // 00000000EDBC: 682424FF 00002000
	v_mov_b32_e32 v20, v152                                    // 00000000EDC4: 7E280398
	v_accvgpr_read_b32 v21, a144                               // 00000000EDC8: D3D84015 18000190
	v_accvgpr_read_b32 v22, a148                               // 00000000EDD0: D3D84016 18000194
	v_accvgpr_read_b32 v23, a152                               // 00000000EDD8: D3D84017 18000198
	v_mul_f32_e32 v20, s43, v20                                // 00000000EDE0: 0A28282B
	v_mul_f32_e32 v21, s43, v21                                // 00000000EDE4: 0A2A2A2B
	v_mul_f32_e32 v22, s43, v22                                // 00000000EDE8: 0A2C2C2B
	v_mul_f32_e32 v23, s43, v23                                // 00000000EDEC: 0A2E2E2B
	ds_write_b128 v5, v[20:23]                                 // 00000000EDF0: D9BE0000 00001405
	v_mov_b32_e32 v20, v153                                    // 00000000EDF8: 7E280399
	v_accvgpr_read_b32 v21, a145                               // 00000000EDFC: D3D84015 18000191
	v_accvgpr_read_b32 v22, a149                               // 00000000EE04: D3D84016 18000195
	v_accvgpr_read_b32 v23, a153                               // 00000000EE0C: D3D84017 18000199
	v_mul_f32_e32 v20, s43, v20                                // 00000000EE14: 0A28282B
	v_mul_f32_e32 v21, s43, v21                                // 00000000EE18: 0A2A2A2B
	v_mul_f32_e32 v22, s43, v22                                // 00000000EE1C: 0A2C2C2B
	v_mul_f32_e32 v23, s43, v23                                // 00000000EE20: 0A2E2E2B
	ds_write_b128 v5, v[20:23] offset:1056                     // 00000000EE24: D9BE0420 00001405
	v_mov_b32_e32 v20, v154                                    // 00000000EE2C: 7E28039A
	v_accvgpr_read_b32 v21, a146                               // 00000000EE30: D3D84015 18000192
	v_accvgpr_read_b32 v22, a150                               // 00000000EE38: D3D84016 18000196
	v_accvgpr_read_b32 v23, a154                               // 00000000EE40: D3D84017 1800019A
	v_mul_f32_e32 v20, s43, v20                                // 00000000EE48: 0A28282B
	v_mul_f32_e32 v21, s43, v21                                // 00000000EE4C: 0A2A2A2B
	v_mul_f32_e32 v22, s43, v22                                // 00000000EE50: 0A2C2C2B
	v_mul_f32_e32 v23, s43, v23                                // 00000000EE54: 0A2E2E2B
	ds_write_b128 v5, v[20:23] offset:2112                     // 00000000EE58: D9BE0840 00001405
	v_mov_b32_e32 v20, v155                                    // 00000000EE60: 7E28039B
	v_accvgpr_read_b32 v21, a147                               // 00000000EE64: D3D84015 18000193
	v_accvgpr_read_b32 v22, a151                               // 00000000EE6C: D3D84016 18000197
	v_accvgpr_read_b32 v23, a155                               // 00000000EE74: D3D84017 1800019B
	v_mul_f32_e32 v20, s43, v20                                // 00000000EE7C: 0A28282B
	v_mul_f32_e32 v21, s43, v21                                // 00000000EE80: 0A2A2A2B
	v_mul_f32_e32 v22, s43, v22                                // 00000000EE84: 0A2C2C2B
	v_mul_f32_e32 v23, s43, v23                                // 00000000EE88: 0A2E2E2B
	ds_write_b128 v5, v[20:23] offset:3168                     // 00000000EE8C: D9BE0C60 00001405
	v_accvgpr_read_b32 v20, a156                               // 00000000EE94: D3D84014 1800019C
	v_accvgpr_read_b32 v21, a160                               // 00000000EE9C: D3D84015 180001A0
	v_accvgpr_read_b32 v22, a164                               // 00000000EEA4: D3D84016 180001A4
	v_accvgpr_read_b32 v23, a168                               // 00000000EEAC: D3D84017 180001A8
	v_mul_f32_e32 v20, s43, v20                                // 00000000EEB4: 0A28282B
	v_mul_f32_e32 v21, s43, v21                                // 00000000EEB8: 0A2A2A2B
	v_mul_f32_e32 v22, s43, v22                                // 00000000EEBC: 0A2C2C2B
	v_mul_f32_e32 v23, s43, v23                                // 00000000EEC0: 0A2E2E2B
	ds_write_b128 v5, v[20:23] offset:4224                     // 00000000EEC4: D9BE1080 00001405
	v_accvgpr_read_b32 v20, a157                               // 00000000EECC: D3D84014 1800019D
	v_accvgpr_read_b32 v21, a161                               // 00000000EED4: D3D84015 180001A1
	v_accvgpr_read_b32 v22, a165                               // 00000000EEDC: D3D84016 180001A5
	v_accvgpr_read_b32 v23, a169                               // 00000000EEE4: D3D84017 180001A9
	v_mul_f32_e32 v20, s43, v20                                // 00000000EEEC: 0A28282B
	v_mul_f32_e32 v21, s43, v21                                // 00000000EEF0: 0A2A2A2B
	v_mul_f32_e32 v22, s43, v22                                // 00000000EEF4: 0A2C2C2B
	v_mul_f32_e32 v23, s43, v23                                // 00000000EEF8: 0A2E2E2B
	ds_write_b128 v5, v[20:23] offset:5280                     // 00000000EEFC: D9BE14A0 00001405
	v_accvgpr_read_b32 v20, a158                               // 00000000EF04: D3D84014 1800019E
	v_accvgpr_read_b32 v21, a162                               // 00000000EF0C: D3D84015 180001A2
	v_accvgpr_read_b32 v22, a166                               // 00000000EF14: D3D84016 180001A6
	v_accvgpr_read_b32 v23, a170                               // 00000000EF1C: D3D84017 180001AA
	v_mul_f32_e32 v20, s43, v20                                // 00000000EF24: 0A28282B
	v_mul_f32_e32 v21, s43, v21                                // 00000000EF28: 0A2A2A2B
	v_mul_f32_e32 v22, s43, v22                                // 00000000EF2C: 0A2C2C2B
	v_mul_f32_e32 v23, s43, v23                                // 00000000EF30: 0A2E2E2B
	ds_write_b128 v5, v[20:23] offset:6336                     // 00000000EF34: D9BE18C0 00001405
	v_accvgpr_read_b32 v20, a159                               // 00000000EF3C: D3D84014 1800019F
	v_accvgpr_read_b32 v21, a163                               // 00000000EF44: D3D84015 180001A3
	v_accvgpr_read_b32 v22, a167                               // 00000000EF4C: D3D84016 180001A7
	v_accvgpr_read_b32 v23, a171                               // 00000000EF54: D3D84017 180001AB
	v_mul_f32_e32 v20, s43, v20                                // 00000000EF5C: 0A28282B
	v_mul_f32_e32 v21, s43, v21                                // 00000000EF60: 0A2A2A2B
	v_mul_f32_e32 v22, s43, v22                                // 00000000EF64: 0A2C2C2B
	v_mul_f32_e32 v23, s43, v23                                // 00000000EF68: 0A2E2E2B
	ds_write_b128 v5, v[20:23] offset:7392                     // 00000000EF6C: D9BE1CE0 00001405
	s_waitcnt lgkmcnt(4)                                       // 00000000EF74: BF8CC47F
	ds_read_b128 v[56:59], v4                                  // 00000000EF78: D9FE0000 38000004
	ds_read_b128 v[60:63], v4 offset:64                        // 00000000EF80: D9FE0040 3C000004
	ds_read_b128 v[64:67], v4 offset:128                       // 00000000EF88: D9FE0080 40000004
	ds_read_b128 v[68:71], v4 offset:192                       // 00000000EF90: D9FE00C0 44000004
	s_waitcnt lgkmcnt(4)                                       // 00000000EF98: BF8CC47F
	ds_read_b128 v[72:75], v4 offset:4224                      // 00000000EF9C: D9FE1080 48000004
	ds_read_b128 v[76:79], v4 offset:4288                      // 00000000EFA4: D9FE10C0 4C000004
	ds_read_b128 v[80:83], v4 offset:4352                      // 00000000EFAC: D9FE1100 50000004
	ds_read_b128 v[84:87], v4 offset:4416                      // 00000000EFB4: D9FE1140 54000004
	s_waitcnt lgkmcnt(0)                                       // 00000000EFBC: BF8CC07F
	v_mov_b32_e32 v18, v19                                     // 00000000EFC0: 7E240313
	buffer_store_dwordx4 v[56:59], v18, s[8:11], 0 offen offset:1536// 00000000EFC4: E07C1600 80023812
	buffer_store_dwordx4 v[72:75], v18, s[8:11], 0 offen offset:1792// 00000000EFCC: E07C1700 80024812
	v_add_u32_e32 v18, 0x2000, v18                             // 00000000EFD4: 682424FF 00002000
	buffer_store_dwordx4 v[60:63], v18, s[8:11], 0 offen offset:1536// 00000000EFDC: E07C1600 80023C12
	buffer_store_dwordx4 v[76:79], v18, s[8:11], 0 offen offset:1792// 00000000EFE4: E07C1700 80024C12
	v_add_u32_e32 v18, 0x2000, v18                             // 00000000EFEC: 682424FF 00002000
	buffer_store_dwordx4 v[64:67], v18, s[8:11], 0 offen offset:1536// 00000000EFF4: E07C1600 80024012
	buffer_store_dwordx4 v[80:83], v18, s[8:11], 0 offen offset:1792// 00000000EFFC: E07C1700 80025012
	v_add_u32_e32 v18, 0x2000, v18                             // 00000000F004: 682424FF 00002000
	buffer_store_dwordx4 v[68:71], v18, s[8:11], 0 offen offset:1536// 00000000F00C: E07C1600 80024412
	buffer_store_dwordx4 v[84:87], v18, s[8:11], 0 offen offset:1792// 00000000F014: E07C1700 80025412
	v_add_u32_e32 v18, 0x2000, v18                             // 00000000F01C: 682424FF 00002000
	buffer_store_dword v24, v26, s[12:15], 0 offen             // 00000000F024: E0701000 8003181A
	s_mov_b32 s56, 0x100                                       // 00000000F02C: BEB800FF 00000100
	v_add_u32_e64 v26, v26, s56                                // 00000000F034: D134001A 0000711A
	s_mov_b32 s56, 0x20000                                     // 00000000F03C: BEB800FF 00020000
	v_add_u32_e64 v19, v19, s56                                // 00000000F044: D1340013 00007113
	v_mov_b32_e32 v20, v156                                    // 00000000F04C: 7E28039C
	v_mov_b32_e32 v21, v160                                    // 00000000F050: 7E2A03A0
	v_mov_b32_e32 v22, v164                                    // 00000000F054: 7E2C03A4
	v_mov_b32_e32 v23, v168                                    // 00000000F058: 7E2E03A8
	v_mul_f32_e32 v20, s43, v20                                // 00000000F05C: 0A28282B
	v_mul_f32_e32 v21, s43, v21                                // 00000000F060: 0A2A2A2B
	v_mul_f32_e32 v22, s43, v22                                // 00000000F064: 0A2C2C2B
	v_mul_f32_e32 v23, s43, v23                                // 00000000F068: 0A2E2E2B
	ds_write_b128 v5, v[20:23]                                 // 00000000F06C: D9BE0000 00001405
	v_mov_b32_e32 v20, v157                                    // 00000000F074: 7E28039D
	v_mov_b32_e32 v21, v161                                    // 00000000F078: 7E2A03A1
	v_mov_b32_e32 v22, v165                                    // 00000000F07C: 7E2C03A5
	v_mov_b32_e32 v23, v169                                    // 00000000F080: 7E2E03A9
	v_mul_f32_e32 v20, s43, v20                                // 00000000F084: 0A28282B
	v_mul_f32_e32 v21, s43, v21                                // 00000000F088: 0A2A2A2B
	v_mul_f32_e32 v22, s43, v22                                // 00000000F08C: 0A2C2C2B
	v_mul_f32_e32 v23, s43, v23                                // 00000000F090: 0A2E2E2B
	ds_write_b128 v5, v[20:23] offset:1056                     // 00000000F094: D9BE0420 00001405
	v_mov_b32_e32 v20, v158                                    // 00000000F09C: 7E28039E
	v_mov_b32_e32 v21, v162                                    // 00000000F0A0: 7E2A03A2
	v_mov_b32_e32 v22, v166                                    // 00000000F0A4: 7E2C03A6
	v_mov_b32_e32 v23, v170                                    // 00000000F0A8: 7E2E03AA
	v_mul_f32_e32 v20, s43, v20                                // 00000000F0AC: 0A28282B
	v_mul_f32_e32 v21, s43, v21                                // 00000000F0B0: 0A2A2A2B
	v_mul_f32_e32 v22, s43, v22                                // 00000000F0B4: 0A2C2C2B
	v_mul_f32_e32 v23, s43, v23                                // 00000000F0B8: 0A2E2E2B
	ds_write_b128 v5, v[20:23] offset:2112                     // 00000000F0BC: D9BE0840 00001405
	v_mov_b32_e32 v20, v159                                    // 00000000F0C4: 7E28039F
	v_mov_b32_e32 v21, v163                                    // 00000000F0C8: 7E2A03A3
	v_mov_b32_e32 v22, v167                                    // 00000000F0CC: 7E2C03A7
	v_mov_b32_e32 v23, v171                                    // 00000000F0D0: 7E2E03AB
	v_mul_f32_e32 v20, s43, v20                                // 00000000F0D4: 0A28282B
	v_mul_f32_e32 v21, s43, v21                                // 00000000F0D8: 0A2A2A2B
	v_mul_f32_e32 v22, s43, v22                                // 00000000F0DC: 0A2C2C2B
	v_mul_f32_e32 v23, s43, v23                                // 00000000F0E0: 0A2E2E2B
	ds_write_b128 v5, v[20:23] offset:3168                     // 00000000F0E4: D9BE0C60 00001405
	v_mov_b32_e32 v20, v172                                    // 00000000F0EC: 7E2803AC
	v_mov_b32_e32 v21, v176                                    // 00000000F0F0: 7E2A03B0
	v_mov_b32_e32 v22, v180                                    // 00000000F0F4: 7E2C03B4
	v_mov_b32_e32 v23, v184                                    // 00000000F0F8: 7E2E03B8
	v_mul_f32_e32 v20, s43, v20                                // 00000000F0FC: 0A28282B
	v_mul_f32_e32 v21, s43, v21                                // 00000000F100: 0A2A2A2B
	v_mul_f32_e32 v22, s43, v22                                // 00000000F104: 0A2C2C2B
	v_mul_f32_e32 v23, s43, v23                                // 00000000F108: 0A2E2E2B
	ds_write_b128 v5, v[20:23] offset:4224                     // 00000000F10C: D9BE1080 00001405
	v_mov_b32_e32 v20, v173                                    // 00000000F114: 7E2803AD
	v_mov_b32_e32 v21, v177                                    // 00000000F118: 7E2A03B1
	v_mov_b32_e32 v22, v181                                    // 00000000F11C: 7E2C03B5
	v_mov_b32_e32 v23, v185                                    // 00000000F120: 7E2E03B9
	v_mul_f32_e32 v20, s43, v20                                // 00000000F124: 0A28282B
	v_mul_f32_e32 v21, s43, v21                                // 00000000F128: 0A2A2A2B
	v_mul_f32_e32 v22, s43, v22                                // 00000000F12C: 0A2C2C2B
	v_mul_f32_e32 v23, s43, v23                                // 00000000F130: 0A2E2E2B
	ds_write_b128 v5, v[20:23] offset:5280                     // 00000000F134: D9BE14A0 00001405
	v_mov_b32_e32 v20, v174                                    // 00000000F13C: 7E2803AE
	v_mov_b32_e32 v21, v178                                    // 00000000F140: 7E2A03B2
	v_mov_b32_e32 v22, v182                                    // 00000000F144: 7E2C03B6
	v_mov_b32_e32 v23, v186                                    // 00000000F148: 7E2E03BA
	v_mul_f32_e32 v20, s43, v20                                // 00000000F14C: 0A28282B
	v_mul_f32_e32 v21, s43, v21                                // 00000000F150: 0A2A2A2B
	v_mul_f32_e32 v22, s43, v22                                // 00000000F154: 0A2C2C2B
	v_mul_f32_e32 v23, s43, v23                                // 00000000F158: 0A2E2E2B
	ds_write_b128 v5, v[20:23] offset:6336                     // 00000000F15C: D9BE18C0 00001405
	v_mov_b32_e32 v20, v175                                    // 00000000F164: 7E2803AF
	v_mov_b32_e32 v21, v179                                    // 00000000F168: 7E2A03B3
	v_mov_b32_e32 v22, v183                                    // 00000000F16C: 7E2C03B7
	v_mov_b32_e32 v23, v187                                    // 00000000F170: 7E2E03BB
	v_mul_f32_e32 v20, s43, v20                                // 00000000F174: 0A28282B
	v_mul_f32_e32 v21, s43, v21                                // 00000000F178: 0A2A2A2B
	v_mul_f32_e32 v22, s43, v22                                // 00000000F17C: 0A2C2C2B
	v_mul_f32_e32 v23, s43, v23                                // 00000000F180: 0A2E2E2B
	ds_write_b128 v5, v[20:23] offset:7392                     // 00000000F184: D9BE1CE0 00001405
	s_waitcnt lgkmcnt(4)                                       // 00000000F18C: BF8CC47F
	ds_read_b128 v[56:59], v4                                  // 00000000F190: D9FE0000 38000004
	ds_read_b128 v[60:63], v4 offset:64                        // 00000000F198: D9FE0040 3C000004
	ds_read_b128 v[64:67], v4 offset:128                       // 00000000F1A0: D9FE0080 40000004
	ds_read_b128 v[68:71], v4 offset:192                       // 00000000F1A8: D9FE00C0 44000004
	s_waitcnt lgkmcnt(4)                                       // 00000000F1B0: BF8CC47F
	ds_read_b128 v[72:75], v4 offset:4224                      // 00000000F1B4: D9FE1080 48000004
	ds_read_b128 v[76:79], v4 offset:4288                      // 00000000F1BC: D9FE10C0 4C000004
	ds_read_b128 v[80:83], v4 offset:4352                      // 00000000F1C4: D9FE1100 50000004
	ds_read_b128 v[84:87], v4 offset:4416                      // 00000000F1CC: D9FE1140 54000004
	s_waitcnt lgkmcnt(0)                                       // 00000000F1D4: BF8CC07F
	v_mov_b32_e32 v18, v19                                     // 00000000F1D8: 7E240313
	buffer_store_dwordx4 v[56:59], v18, s[8:11], 0 offen       // 00000000F1DC: E07C1000 80023812
	buffer_store_dwordx4 v[72:75], v18, s[8:11], 0 offen offset:256// 00000000F1E4: E07C1100 80024812
	v_add_u32_e32 v18, 0x2000, v18                             // 00000000F1EC: 682424FF 00002000
	buffer_store_dwordx4 v[60:63], v18, s[8:11], 0 offen       // 00000000F1F4: E07C1000 80023C12
	buffer_store_dwordx4 v[76:79], v18, s[8:11], 0 offen offset:256// 00000000F1FC: E07C1100 80024C12
	v_add_u32_e32 v18, 0x2000, v18                             // 00000000F204: 682424FF 00002000
	buffer_store_dwordx4 v[64:67], v18, s[8:11], 0 offen       // 00000000F20C: E07C1000 80024012
	buffer_store_dwordx4 v[80:83], v18, s[8:11], 0 offen offset:256// 00000000F214: E07C1100 80025012
	v_add_u32_e32 v18, 0x2000, v18                             // 00000000F21C: 682424FF 00002000
	buffer_store_dwordx4 v[68:71], v18, s[8:11], 0 offen       // 00000000F224: E07C1000 80024412
	buffer_store_dwordx4 v[84:87], v18, s[8:11], 0 offen offset:256// 00000000F22C: E07C1100 80025412
	v_add_u32_e32 v18, 0x2000, v18                             // 00000000F234: 682424FF 00002000
	v_mov_b32_e32 v20, v188                                    // 00000000F23C: 7E2803BC
	v_mov_b32_e32 v21, v192                                    // 00000000F240: 7E2A03C0
	v_mov_b32_e32 v22, v196                                    // 00000000F244: 7E2C03C4
	v_mov_b32_e32 v23, v200                                    // 00000000F248: 7E2E03C8
	v_mul_f32_e32 v20, s43, v20                                // 00000000F24C: 0A28282B
	v_mul_f32_e32 v21, s43, v21                                // 00000000F250: 0A2A2A2B
	v_mul_f32_e32 v22, s43, v22                                // 00000000F254: 0A2C2C2B
	v_mul_f32_e32 v23, s43, v23                                // 00000000F258: 0A2E2E2B
	ds_write_b128 v5, v[20:23]                                 // 00000000F25C: D9BE0000 00001405
	v_mov_b32_e32 v20, v189                                    // 00000000F264: 7E2803BD
	v_mov_b32_e32 v21, v193                                    // 00000000F268: 7E2A03C1
	v_mov_b32_e32 v22, v197                                    // 00000000F26C: 7E2C03C5
	v_mov_b32_e32 v23, v201                                    // 00000000F270: 7E2E03C9
	v_mul_f32_e32 v20, s43, v20                                // 00000000F274: 0A28282B
	v_mul_f32_e32 v21, s43, v21                                // 00000000F278: 0A2A2A2B
	v_mul_f32_e32 v22, s43, v22                                // 00000000F27C: 0A2C2C2B
	v_mul_f32_e32 v23, s43, v23                                // 00000000F280: 0A2E2E2B
	ds_write_b128 v5, v[20:23] offset:1056                     // 00000000F284: D9BE0420 00001405
	v_mov_b32_e32 v20, v190                                    // 00000000F28C: 7E2803BE
	v_mov_b32_e32 v21, v194                                    // 00000000F290: 7E2A03C2
	v_mov_b32_e32 v22, v198                                    // 00000000F294: 7E2C03C6
	v_mov_b32_e32 v23, v202                                    // 00000000F298: 7E2E03CA
	v_mul_f32_e32 v20, s43, v20                                // 00000000F29C: 0A28282B
	v_mul_f32_e32 v21, s43, v21                                // 00000000F2A0: 0A2A2A2B
	v_mul_f32_e32 v22, s43, v22                                // 00000000F2A4: 0A2C2C2B
	v_mul_f32_e32 v23, s43, v23                                // 00000000F2A8: 0A2E2E2B
	ds_write_b128 v5, v[20:23] offset:2112                     // 00000000F2AC: D9BE0840 00001405
	v_mov_b32_e32 v20, v191                                    // 00000000F2B4: 7E2803BF
	v_mov_b32_e32 v21, v195                                    // 00000000F2B8: 7E2A03C3
	v_mov_b32_e32 v22, v199                                    // 00000000F2BC: 7E2C03C7
	v_mov_b32_e32 v23, v203                                    // 00000000F2C0: 7E2E03CB
	v_mul_f32_e32 v20, s43, v20                                // 00000000F2C4: 0A28282B
	v_mul_f32_e32 v21, s43, v21                                // 00000000F2C8: 0A2A2A2B
	v_mul_f32_e32 v22, s43, v22                                // 00000000F2CC: 0A2C2C2B
	v_mul_f32_e32 v23, s43, v23                                // 00000000F2D0: 0A2E2E2B
	ds_write_b128 v5, v[20:23] offset:3168                     // 00000000F2D4: D9BE0C60 00001405
	v_mov_b32_e32 v20, v204                                    // 00000000F2DC: 7E2803CC
	v_mov_b32_e32 v21, v208                                    // 00000000F2E0: 7E2A03D0
	v_mov_b32_e32 v22, v212                                    // 00000000F2E4: 7E2C03D4
	v_mov_b32_e32 v23, v216                                    // 00000000F2E8: 7E2E03D8
	v_mul_f32_e32 v20, s43, v20                                // 00000000F2EC: 0A28282B
	v_mul_f32_e32 v21, s43, v21                                // 00000000F2F0: 0A2A2A2B
	v_mul_f32_e32 v22, s43, v22                                // 00000000F2F4: 0A2C2C2B
	v_mul_f32_e32 v23, s43, v23                                // 00000000F2F8: 0A2E2E2B
	ds_write_b128 v5, v[20:23] offset:4224                     // 00000000F2FC: D9BE1080 00001405
	v_mov_b32_e32 v20, v205                                    // 00000000F304: 7E2803CD
	v_mov_b32_e32 v21, v209                                    // 00000000F308: 7E2A03D1
	v_mov_b32_e32 v22, v213                                    // 00000000F30C: 7E2C03D5
	v_mov_b32_e32 v23, v217                                    // 00000000F310: 7E2E03D9
	v_mul_f32_e32 v20, s43, v20                                // 00000000F314: 0A28282B
	v_mul_f32_e32 v21, s43, v21                                // 00000000F318: 0A2A2A2B
	v_mul_f32_e32 v22, s43, v22                                // 00000000F31C: 0A2C2C2B
	v_mul_f32_e32 v23, s43, v23                                // 00000000F320: 0A2E2E2B
	ds_write_b128 v5, v[20:23] offset:5280                     // 00000000F324: D9BE14A0 00001405
	v_mov_b32_e32 v20, v206                                    // 00000000F32C: 7E2803CE
	v_mov_b32_e32 v21, v210                                    // 00000000F330: 7E2A03D2
	v_mov_b32_e32 v22, v214                                    // 00000000F334: 7E2C03D6
	v_mov_b32_e32 v23, v218                                    // 00000000F338: 7E2E03DA
	v_mul_f32_e32 v20, s43, v20                                // 00000000F33C: 0A28282B
	v_mul_f32_e32 v21, s43, v21                                // 00000000F340: 0A2A2A2B
	v_mul_f32_e32 v22, s43, v22                                // 00000000F344: 0A2C2C2B
	v_mul_f32_e32 v23, s43, v23                                // 00000000F348: 0A2E2E2B
	ds_write_b128 v5, v[20:23] offset:6336                     // 00000000F34C: D9BE18C0 00001405
	v_mov_b32_e32 v20, v207                                    // 00000000F354: 7E2803CF
	v_mov_b32_e32 v21, v211                                    // 00000000F358: 7E2A03D3
	v_mov_b32_e32 v22, v215                                    // 00000000F35C: 7E2C03D7
	v_mov_b32_e32 v23, v219                                    // 00000000F360: 7E2E03DB
	v_mul_f32_e32 v20, s43, v20                                // 00000000F364: 0A28282B
	v_mul_f32_e32 v21, s43, v21                                // 00000000F368: 0A2A2A2B
	v_mul_f32_e32 v22, s43, v22                                // 00000000F36C: 0A2C2C2B
	v_mul_f32_e32 v23, s43, v23                                // 00000000F370: 0A2E2E2B
	ds_write_b128 v5, v[20:23] offset:7392                     // 00000000F374: D9BE1CE0 00001405
	s_waitcnt lgkmcnt(4)                                       // 00000000F37C: BF8CC47F
	ds_read_b128 v[56:59], v4                                  // 00000000F380: D9FE0000 38000004
	ds_read_b128 v[60:63], v4 offset:64                        // 00000000F388: D9FE0040 3C000004
	ds_read_b128 v[64:67], v4 offset:128                       // 00000000F390: D9FE0080 40000004
	ds_read_b128 v[68:71], v4 offset:192                       // 00000000F398: D9FE00C0 44000004
	s_waitcnt lgkmcnt(4)                                       // 00000000F3A0: BF8CC47F
	ds_read_b128 v[72:75], v4 offset:4224                      // 00000000F3A4: D9FE1080 48000004
	ds_read_b128 v[76:79], v4 offset:4288                      // 00000000F3AC: D9FE10C0 4C000004
	ds_read_b128 v[80:83], v4 offset:4352                      // 00000000F3B4: D9FE1100 50000004
	ds_read_b128 v[84:87], v4 offset:4416                      // 00000000F3BC: D9FE1140 54000004
	s_waitcnt lgkmcnt(0)                                       // 00000000F3C4: BF8CC07F
	v_mov_b32_e32 v18, v19                                     // 00000000F3C8: 7E240313
	buffer_store_dwordx4 v[56:59], v18, s[8:11], 0 offen offset:512// 00000000F3CC: E07C1200 80023812
	buffer_store_dwordx4 v[72:75], v18, s[8:11], 0 offen offset:768// 00000000F3D4: E07C1300 80024812
	v_add_u32_e32 v18, 0x2000, v18                             // 00000000F3DC: 682424FF 00002000
	buffer_store_dwordx4 v[60:63], v18, s[8:11], 0 offen offset:512// 00000000F3E4: E07C1200 80023C12
	buffer_store_dwordx4 v[76:79], v18, s[8:11], 0 offen offset:768// 00000000F3EC: E07C1300 80024C12
	v_add_u32_e32 v18, 0x2000, v18                             // 00000000F3F4: 682424FF 00002000
	buffer_store_dwordx4 v[64:67], v18, s[8:11], 0 offen offset:512// 00000000F3FC: E07C1200 80024012
	buffer_store_dwordx4 v[80:83], v18, s[8:11], 0 offen offset:768// 00000000F404: E07C1300 80025012
	v_add_u32_e32 v18, 0x2000, v18                             // 00000000F40C: 682424FF 00002000
	buffer_store_dwordx4 v[68:71], v18, s[8:11], 0 offen offset:512// 00000000F414: E07C1200 80024412
	buffer_store_dwordx4 v[84:87], v18, s[8:11], 0 offen offset:768// 00000000F41C: E07C1300 80025412
	v_add_u32_e32 v18, 0x2000, v18                             // 00000000F424: 682424FF 00002000
	v_mov_b32_e32 v20, v220                                    // 00000000F42C: 7E2803DC
	v_mov_b32_e32 v21, v224                                    // 00000000F430: 7E2A03E0
	v_mov_b32_e32 v22, v228                                    // 00000000F434: 7E2C03E4
	v_mov_b32_e32 v23, v232                                    // 00000000F438: 7E2E03E8
	v_mul_f32_e32 v20, s43, v20                                // 00000000F43C: 0A28282B
	v_mul_f32_e32 v21, s43, v21                                // 00000000F440: 0A2A2A2B
	v_mul_f32_e32 v22, s43, v22                                // 00000000F444: 0A2C2C2B
	v_mul_f32_e32 v23, s43, v23                                // 00000000F448: 0A2E2E2B
	ds_write_b128 v5, v[20:23]                                 // 00000000F44C: D9BE0000 00001405
	v_mov_b32_e32 v20, v221                                    // 00000000F454: 7E2803DD
	v_mov_b32_e32 v21, v225                                    // 00000000F458: 7E2A03E1
	v_mov_b32_e32 v22, v229                                    // 00000000F45C: 7E2C03E5
	v_mov_b32_e32 v23, v233                                    // 00000000F460: 7E2E03E9
	v_mul_f32_e32 v20, s43, v20                                // 00000000F464: 0A28282B
	v_mul_f32_e32 v21, s43, v21                                // 00000000F468: 0A2A2A2B
	v_mul_f32_e32 v22, s43, v22                                // 00000000F46C: 0A2C2C2B
	v_mul_f32_e32 v23, s43, v23                                // 00000000F470: 0A2E2E2B
	ds_write_b128 v5, v[20:23] offset:1056                     // 00000000F474: D9BE0420 00001405
	v_mov_b32_e32 v20, v222                                    // 00000000F47C: 7E2803DE
	v_mov_b32_e32 v21, v226                                    // 00000000F480: 7E2A03E2
	v_mov_b32_e32 v22, v230                                    // 00000000F484: 7E2C03E6
	v_mov_b32_e32 v23, v234                                    // 00000000F488: 7E2E03EA
	v_mul_f32_e32 v20, s43, v20                                // 00000000F48C: 0A28282B
	v_mul_f32_e32 v21, s43, v21                                // 00000000F490: 0A2A2A2B
	v_mul_f32_e32 v22, s43, v22                                // 00000000F494: 0A2C2C2B
	v_mul_f32_e32 v23, s43, v23                                // 00000000F498: 0A2E2E2B
	ds_write_b128 v5, v[20:23] offset:2112                     // 00000000F49C: D9BE0840 00001405
	v_mov_b32_e32 v20, v223                                    // 00000000F4A4: 7E2803DF
	v_mov_b32_e32 v21, v227                                    // 00000000F4A8: 7E2A03E3
	v_mov_b32_e32 v22, v231                                    // 00000000F4AC: 7E2C03E7
	v_mov_b32_e32 v23, v235                                    // 00000000F4B0: 7E2E03EB
	v_mul_f32_e32 v20, s43, v20                                // 00000000F4B4: 0A28282B
	v_mul_f32_e32 v21, s43, v21                                // 00000000F4B8: 0A2A2A2B
	v_mul_f32_e32 v22, s43, v22                                // 00000000F4BC: 0A2C2C2B
	v_mul_f32_e32 v23, s43, v23                                // 00000000F4C0: 0A2E2E2B
	ds_write_b128 v5, v[20:23] offset:3168                     // 00000000F4C4: D9BE0C60 00001405
	v_mov_b32_e32 v20, v236                                    // 00000000F4CC: 7E2803EC
	v_mov_b32_e32 v21, v240                                    // 00000000F4D0: 7E2A03F0
	v_mov_b32_e32 v22, v244                                    // 00000000F4D4: 7E2C03F4
	v_mov_b32_e32 v23, v248                                    // 00000000F4D8: 7E2E03F8
	v_mul_f32_e32 v20, s43, v20                                // 00000000F4DC: 0A28282B
	v_mul_f32_e32 v21, s43, v21                                // 00000000F4E0: 0A2A2A2B
	v_mul_f32_e32 v22, s43, v22                                // 00000000F4E4: 0A2C2C2B
	v_mul_f32_e32 v23, s43, v23                                // 00000000F4E8: 0A2E2E2B
	ds_write_b128 v5, v[20:23] offset:4224                     // 00000000F4EC: D9BE1080 00001405
	v_mov_b32_e32 v20, v237                                    // 00000000F4F4: 7E2803ED
	v_mov_b32_e32 v21, v241                                    // 00000000F4F8: 7E2A03F1
	v_mov_b32_e32 v22, v245                                    // 00000000F4FC: 7E2C03F5
	v_mov_b32_e32 v23, v249                                    // 00000000F500: 7E2E03F9
	v_mul_f32_e32 v20, s43, v20                                // 00000000F504: 0A28282B
	v_mul_f32_e32 v21, s43, v21                                // 00000000F508: 0A2A2A2B
	v_mul_f32_e32 v22, s43, v22                                // 00000000F50C: 0A2C2C2B
	v_mul_f32_e32 v23, s43, v23                                // 00000000F510: 0A2E2E2B
	ds_write_b128 v5, v[20:23] offset:5280                     // 00000000F514: D9BE14A0 00001405
	v_mov_b32_e32 v20, v238                                    // 00000000F51C: 7E2803EE
	v_mov_b32_e32 v21, v242                                    // 00000000F520: 7E2A03F2
	v_mov_b32_e32 v22, v246                                    // 00000000F524: 7E2C03F6
	v_mov_b32_e32 v23, v250                                    // 00000000F528: 7E2E03FA
	v_mul_f32_e32 v20, s43, v20                                // 00000000F52C: 0A28282B
	v_mul_f32_e32 v21, s43, v21                                // 00000000F530: 0A2A2A2B
	v_mul_f32_e32 v22, s43, v22                                // 00000000F534: 0A2C2C2B
	v_mul_f32_e32 v23, s43, v23                                // 00000000F538: 0A2E2E2B
	ds_write_b128 v5, v[20:23] offset:6336                     // 00000000F53C: D9BE18C0 00001405
	v_mov_b32_e32 v20, v239                                    // 00000000F544: 7E2803EF
	v_mov_b32_e32 v21, v243                                    // 00000000F548: 7E2A03F3
	v_mov_b32_e32 v22, v247                                    // 00000000F54C: 7E2C03F7
	v_mov_b32_e32 v23, v251                                    // 00000000F550: 7E2E03FB
	v_mul_f32_e32 v20, s43, v20                                // 00000000F554: 0A28282B
	v_mul_f32_e32 v21, s43, v21                                // 00000000F558: 0A2A2A2B
	v_mul_f32_e32 v22, s43, v22                                // 00000000F55C: 0A2C2C2B
	v_mul_f32_e32 v23, s43, v23                                // 00000000F560: 0A2E2E2B
	ds_write_b128 v5, v[20:23] offset:7392                     // 00000000F564: D9BE1CE0 00001405
	s_waitcnt lgkmcnt(4)                                       // 00000000F56C: BF8CC47F
	ds_read_b128 v[56:59], v4                                  // 00000000F570: D9FE0000 38000004
	ds_read_b128 v[60:63], v4 offset:64                        // 00000000F578: D9FE0040 3C000004
	ds_read_b128 v[64:67], v4 offset:128                       // 00000000F580: D9FE0080 40000004
	ds_read_b128 v[68:71], v4 offset:192                       // 00000000F588: D9FE00C0 44000004
	s_waitcnt lgkmcnt(4)                                       // 00000000F590: BF8CC47F
	ds_read_b128 v[72:75], v4 offset:4224                      // 00000000F594: D9FE1080 48000004
	ds_read_b128 v[76:79], v4 offset:4288                      // 00000000F59C: D9FE10C0 4C000004
	ds_read_b128 v[80:83], v4 offset:4352                      // 00000000F5A4: D9FE1100 50000004
	ds_read_b128 v[84:87], v4 offset:4416                      // 00000000F5AC: D9FE1140 54000004
	s_waitcnt lgkmcnt(0)                                       // 00000000F5B4: BF8CC07F
	v_mov_b32_e32 v18, v19                                     // 00000000F5B8: 7E240313
	buffer_store_dwordx4 v[56:59], v18, s[8:11], 0 offen offset:1024// 00000000F5BC: E07C1400 80023812
	buffer_store_dwordx4 v[72:75], v18, s[8:11], 0 offen offset:1280// 00000000F5C4: E07C1500 80024812
	v_add_u32_e32 v18, 0x2000, v18                             // 00000000F5CC: 682424FF 00002000
	buffer_store_dwordx4 v[60:63], v18, s[8:11], 0 offen offset:1024// 00000000F5D4: E07C1400 80023C12
	buffer_store_dwordx4 v[76:79], v18, s[8:11], 0 offen offset:1280// 00000000F5DC: E07C1500 80024C12
	v_add_u32_e32 v18, 0x2000, v18                             // 00000000F5E4: 682424FF 00002000
	buffer_store_dwordx4 v[64:67], v18, s[8:11], 0 offen offset:1024// 00000000F5EC: E07C1400 80024012
	buffer_store_dwordx4 v[80:83], v18, s[8:11], 0 offen offset:1280// 00000000F5F4: E07C1500 80025012
	v_add_u32_e32 v18, 0x2000, v18                             // 00000000F5FC: 682424FF 00002000
	buffer_store_dwordx4 v[68:71], v18, s[8:11], 0 offen offset:1024// 00000000F604: E07C1400 80024412
	buffer_store_dwordx4 v[84:87], v18, s[8:11], 0 offen offset:1280// 00000000F60C: E07C1500 80025412
	v_add_u32_e32 v18, 0x2000, v18                             // 00000000F614: 682424FF 00002000
	v_mov_b32_e32 v20, v252                                    // 00000000F61C: 7E2803FC
	v_accvgpr_read_b32 v21, a172                               // 00000000F620: D3D84015 180001AC
	v_accvgpr_read_b32 v22, a176                               // 00000000F628: D3D84016 180001B0
	v_accvgpr_read_b32 v23, a180                               // 00000000F630: D3D84017 180001B4
	v_mul_f32_e32 v20, s43, v20                                // 00000000F638: 0A28282B
	v_mul_f32_e32 v21, s43, v21                                // 00000000F63C: 0A2A2A2B
	v_mul_f32_e32 v22, s43, v22                                // 00000000F640: 0A2C2C2B
	v_mul_f32_e32 v23, s43, v23                                // 00000000F644: 0A2E2E2B
	ds_write_b128 v5, v[20:23]                                 // 00000000F648: D9BE0000 00001405
	v_mov_b32_e32 v20, v253                                    // 00000000F650: 7E2803FD
	v_accvgpr_read_b32 v21, a173                               // 00000000F654: D3D84015 180001AD
	v_accvgpr_read_b32 v22, a177                               // 00000000F65C: D3D84016 180001B1
	v_accvgpr_read_b32 v23, a181                               // 00000000F664: D3D84017 180001B5
	v_mul_f32_e32 v20, s43, v20                                // 00000000F66C: 0A28282B
	v_mul_f32_e32 v21, s43, v21                                // 00000000F670: 0A2A2A2B
	v_mul_f32_e32 v22, s43, v22                                // 00000000F674: 0A2C2C2B
	v_mul_f32_e32 v23, s43, v23                                // 00000000F678: 0A2E2E2B
	ds_write_b128 v5, v[20:23] offset:1056                     // 00000000F67C: D9BE0420 00001405
	v_mov_b32_e32 v20, v254                                    // 00000000F684: 7E2803FE
	v_accvgpr_read_b32 v21, a174                               // 00000000F688: D3D84015 180001AE
	v_accvgpr_read_b32 v22, a178                               // 00000000F690: D3D84016 180001B2
	v_accvgpr_read_b32 v23, a182                               // 00000000F698: D3D84017 180001B6
	v_mul_f32_e32 v20, s43, v20                                // 00000000F6A0: 0A28282B
	v_mul_f32_e32 v21, s43, v21                                // 00000000F6A4: 0A2A2A2B
	v_mul_f32_e32 v22, s43, v22                                // 00000000F6A8: 0A2C2C2B
	v_mul_f32_e32 v23, s43, v23                                // 00000000F6AC: 0A2E2E2B
	ds_write_b128 v5, v[20:23] offset:2112                     // 00000000F6B0: D9BE0840 00001405
	v_mov_b32_e32 v20, v255                                    // 00000000F6B8: 7E2803FF
	v_accvgpr_read_b32 v21, a175                               // 00000000F6BC: D3D84015 180001AF
	v_accvgpr_read_b32 v22, a179                               // 00000000F6C4: D3D84016 180001B3
	v_accvgpr_read_b32 v23, a183                               // 00000000F6CC: D3D84017 180001B7
	v_mul_f32_e32 v20, s43, v20                                // 00000000F6D4: 0A28282B
	v_mul_f32_e32 v21, s43, v21                                // 00000000F6D8: 0A2A2A2B
	v_mul_f32_e32 v22, s43, v22                                // 00000000F6DC: 0A2C2C2B
	v_mul_f32_e32 v23, s43, v23                                // 00000000F6E0: 0A2E2E2B
	ds_write_b128 v5, v[20:23] offset:3168                     // 00000000F6E4: D9BE0C60 00001405
	v_accvgpr_read_b32 v20, a184                               // 00000000F6EC: D3D84014 180001B8
	v_accvgpr_read_b32 v21, a188                               // 00000000F6F4: D3D84015 180001BC
	v_accvgpr_read_b32 v22, a192                               // 00000000F6FC: D3D84016 180001C0
	v_accvgpr_read_b32 v23, a196                               // 00000000F704: D3D84017 180001C4
	v_mul_f32_e32 v20, s43, v20                                // 00000000F70C: 0A28282B
	v_mul_f32_e32 v21, s43, v21                                // 00000000F710: 0A2A2A2B
	v_mul_f32_e32 v22, s43, v22                                // 00000000F714: 0A2C2C2B
	v_mul_f32_e32 v23, s43, v23                                // 00000000F718: 0A2E2E2B
	ds_write_b128 v5, v[20:23] offset:4224                     // 00000000F71C: D9BE1080 00001405
	v_accvgpr_read_b32 v20, a185                               // 00000000F724: D3D84014 180001B9
	v_accvgpr_read_b32 v21, a189                               // 00000000F72C: D3D84015 180001BD
	v_accvgpr_read_b32 v22, a193                               // 00000000F734: D3D84016 180001C1
	v_accvgpr_read_b32 v23, a197                               // 00000000F73C: D3D84017 180001C5
	v_mul_f32_e32 v20, s43, v20                                // 00000000F744: 0A28282B
	v_mul_f32_e32 v21, s43, v21                                // 00000000F748: 0A2A2A2B
	v_mul_f32_e32 v22, s43, v22                                // 00000000F74C: 0A2C2C2B
	v_mul_f32_e32 v23, s43, v23                                // 00000000F750: 0A2E2E2B
	ds_write_b128 v5, v[20:23] offset:5280                     // 00000000F754: D9BE14A0 00001405
	v_accvgpr_read_b32 v20, a186                               // 00000000F75C: D3D84014 180001BA
	v_accvgpr_read_b32 v21, a190                               // 00000000F764: D3D84015 180001BE
	v_accvgpr_read_b32 v22, a194                               // 00000000F76C: D3D84016 180001C2
	v_accvgpr_read_b32 v23, a198                               // 00000000F774: D3D84017 180001C6
	v_mul_f32_e32 v20, s43, v20                                // 00000000F77C: 0A28282B
	v_mul_f32_e32 v21, s43, v21                                // 00000000F780: 0A2A2A2B
	v_mul_f32_e32 v22, s43, v22                                // 00000000F784: 0A2C2C2B
	v_mul_f32_e32 v23, s43, v23                                // 00000000F788: 0A2E2E2B
	ds_write_b128 v5, v[20:23] offset:6336                     // 00000000F78C: D9BE18C0 00001405
	v_accvgpr_read_b32 v20, a187                               // 00000000F794: D3D84014 180001BB
	v_accvgpr_read_b32 v21, a191                               // 00000000F79C: D3D84015 180001BF
	v_accvgpr_read_b32 v22, a195                               // 00000000F7A4: D3D84016 180001C3
	v_accvgpr_read_b32 v23, a199                               // 00000000F7AC: D3D84017 180001C7
	v_mul_f32_e32 v20, s43, v20                                // 00000000F7B4: 0A28282B
	v_mul_f32_e32 v21, s43, v21                                // 00000000F7B8: 0A2A2A2B
	v_mul_f32_e32 v22, s43, v22                                // 00000000F7BC: 0A2C2C2B
	v_mul_f32_e32 v23, s43, v23                                // 00000000F7C0: 0A2E2E2B
	ds_write_b128 v5, v[20:23] offset:7392                     // 00000000F7C4: D9BE1CE0 00001405
	s_waitcnt lgkmcnt(4)                                       // 00000000F7CC: BF8CC47F
	ds_read_b128 v[56:59], v4                                  // 00000000F7D0: D9FE0000 38000004
	ds_read_b128 v[60:63], v4 offset:64                        // 00000000F7D8: D9FE0040 3C000004
	ds_read_b128 v[64:67], v4 offset:128                       // 00000000F7E0: D9FE0080 40000004
	ds_read_b128 v[68:71], v4 offset:192                       // 00000000F7E8: D9FE00C0 44000004
	s_waitcnt lgkmcnt(4)                                       // 00000000F7F0: BF8CC47F
	ds_read_b128 v[72:75], v4 offset:4224                      // 00000000F7F4: D9FE1080 48000004
	ds_read_b128 v[76:79], v4 offset:4288                      // 00000000F7FC: D9FE10C0 4C000004
	ds_read_b128 v[80:83], v4 offset:4352                      // 00000000F804: D9FE1100 50000004
	ds_read_b128 v[84:87], v4 offset:4416                      // 00000000F80C: D9FE1140 54000004
	s_waitcnt lgkmcnt(0)                                       // 00000000F814: BF8CC07F
	v_mov_b32_e32 v18, v19                                     // 00000000F818: 7E240313
	buffer_store_dwordx4 v[56:59], v18, s[8:11], 0 offen offset:1536// 00000000F81C: E07C1600 80023812
	buffer_store_dwordx4 v[72:75], v18, s[8:11], 0 offen offset:1792// 00000000F824: E07C1700 80024812
	v_add_u32_e32 v18, 0x2000, v18                             // 00000000F82C: 682424FF 00002000
	buffer_store_dwordx4 v[60:63], v18, s[8:11], 0 offen offset:1536// 00000000F834: E07C1600 80023C12
	buffer_store_dwordx4 v[76:79], v18, s[8:11], 0 offen offset:1792// 00000000F83C: E07C1700 80024C12
	v_add_u32_e32 v18, 0x2000, v18                             // 00000000F844: 682424FF 00002000
	buffer_store_dwordx4 v[64:67], v18, s[8:11], 0 offen offset:1536// 00000000F84C: E07C1600 80024012
	buffer_store_dwordx4 v[80:83], v18, s[8:11], 0 offen offset:1792// 00000000F854: E07C1700 80025012
	v_add_u32_e32 v18, 0x2000, v18                             // 00000000F85C: 682424FF 00002000
	buffer_store_dwordx4 v[68:71], v18, s[8:11], 0 offen offset:1536// 00000000F864: E07C1600 80024412
	buffer_store_dwordx4 v[84:87], v18, s[8:11], 0 offen offset:1792// 00000000F86C: E07C1700 80025412
	v_add_u32_e32 v18, 0x2000, v18                             // 00000000F874: 682424FF 00002000
	buffer_store_dword v25, v26, s[12:15], 0 offen             // 00000000F87C: E0701000 8003191A
	s_mov_b32 s56, 0x100                                       // 00000000F884: BEB800FF 00000100
	v_add_u32_e64 v26, v26, s56                                // 00000000F88C: D134001A 0000711A

000000000000f894 <label_3565>:
	s_waitcnt vmcnt(0) expcnt(0) lgkmcnt(0)                    // 00000000F894: BF8C0000
	s_endpgm                                                   // 00000000F898: BF810000
